;; amdgpu-corpus repo=pytorch/pytorch kind=compiled arch=gfx950 opt=O3
	.amdgcn_target "amdgcn-amd-amdhsa--gfx950"
	.amdhsa_code_object_version 6
	.section	.text._ZN2at6native12_GLOBAL__N_135_unfold_backward_elementwise_kernelILi256ELi4EZNS1_32_unfold_backward_internal_kernelIhEEvRNS_14TensorIteratorEllllllEUliE_EEviT1_,"axG",@progbits,_ZN2at6native12_GLOBAL__N_135_unfold_backward_elementwise_kernelILi256ELi4EZNS1_32_unfold_backward_internal_kernelIhEEvRNS_14TensorIteratorEllllllEUliE_EEviT1_,comdat
	.globl	_ZN2at6native12_GLOBAL__N_135_unfold_backward_elementwise_kernelILi256ELi4EZNS1_32_unfold_backward_internal_kernelIhEEvRNS_14TensorIteratorEllllllEUliE_EEviT1_ ; -- Begin function _ZN2at6native12_GLOBAL__N_135_unfold_backward_elementwise_kernelILi256ELi4EZNS1_32_unfold_backward_internal_kernelIhEEvRNS_14TensorIteratorEllllllEUliE_EEviT1_
	.p2align	8
	.type	_ZN2at6native12_GLOBAL__N_135_unfold_backward_elementwise_kernelILi256ELi4EZNS1_32_unfold_backward_internal_kernelIhEEvRNS_14TensorIteratorEllllllEUliE_EEviT1_,@function
_ZN2at6native12_GLOBAL__N_135_unfold_backward_elementwise_kernelILi256ELi4EZNS1_32_unfold_backward_internal_kernelIhEEvRNS_14TensorIteratorEllllllEUliE_EEviT1_: ; @_ZN2at6native12_GLOBAL__N_135_unfold_backward_elementwise_kernelILi256ELi4EZNS1_32_unfold_backward_internal_kernelIhEEvRNS_14TensorIteratorEllllllEUliE_EEviT1_
; %bb.0:
	s_load_dword s70, s[0:1], 0x0
	s_load_dwordx8 s[20:27], s[0:1], 0x8
	v_lshl_or_b32 v14, s2, 10, v0
	s_waitcnt lgkmcnt(0)
	s_add_u32 s27, s0, 8
	s_load_dwordx16 s[4:19], s[0:1], 0x190
	s_load_dwordx4 s[28:31], s[0:1], 0xcc
	s_load_dwordx2 s[34:35], s[0:1], 0xdc
	s_addc_u32 s33, s1, 0
	v_sub_co_u32_e64 v0, s[2:3], s20, 1
	s_nop 0
	v_readfirstlane_b32 s68, v0
	s_xor_b64 s[64:65], s[2:3], -1
	s_or_b32 s62, s0, 12
	s_min_u32 s69, s68, 15
	s_mov_b32 s63, s1
	s_cmp_gt_u32 s20, 1
	v_cmp_lt_u32_e64 s[0:1], 1, v0
	s_cselect_b64 s[60:61], -1, 0
	s_waitcnt lgkmcnt(0)
	s_add_u32 s14, s14, -1
	v_cndmask_b32_e64 v0, 0, 1, s[0:1]
	s_mov_b64 s[2:3], -1
	s_addc_u32 s15, s15, -1
	v_cmp_gt_i32_e32 vcc, s70, v14
	v_cmp_ne_u32_e64 s[0:1], 1, v0
	s_and_saveexec_b64 s[66:67], vcc
	s_cbranch_execnz .LBB0_4
; %bb.1:
	s_or_b64 exec, exec, s[66:67]
	v_cmp_gt_i32_e32 vcc, s70, v14
	s_and_saveexec_b64 s[66:67], vcc
	s_cbranch_execnz .LBB0_31
.LBB0_2:
	s_or_b64 exec, exec, s[66:67]
	v_cmp_gt_i32_e32 vcc, s70, v14
	s_and_saveexec_b64 s[66:67], vcc
	s_cbranch_execnz .LBB0_58
.LBB0_3:
	s_or_b64 exec, exec, s[66:67]
	v_cmp_gt_i32_e32 vcc, s70, v14
	s_and_saveexec_b64 s[2:3], vcc
	s_cbranch_execnz .LBB0_85
	s_branch .LBB0_111
.LBB0_4:
	s_and_b64 vcc, exec, s[0:1]
                                        ; implicit-def: $vgpr4
                                        ; implicit-def: $vgpr0
                                        ; implicit-def: $vgpr2
	s_cbranch_vccnz .LBB0_14
; %bb.5:
	v_mov_b32_e32 v4, 0
	s_andn2_b64 vcc, exec, s[64:65]
	v_mov_b32_e32 v0, 0
	v_mov_b32_e32 v2, 0
	s_cbranch_vccnz .LBB0_13
; %bb.6:
	s_add_i32 s71, s69, 1
	s_cmp_eq_u32 s68, 2
	s_cbranch_scc1 .LBB0_10
; %bb.7:
	s_and_b32 s20, s71, 28
	v_mov_b32_e32 v2, 0
	s_mov_b32 s72, 0
	s_mov_b64 s[2:3], s[62:63]
	v_mov_b32_e32 v6, v14
	v_mov_b32_e32 v0, 0
	;; [unrolled: 1-line block ×3, first 2 shown]
.LBB0_8:                                ; =>This Inner Loop Header: Depth=1
	s_load_dwordx8 s[36:43], s[2:3], 0x0
	s_load_dwordx4 s[52:55], s[2:3], 0x20
	s_load_dwordx4 s[56:59], s[2:3], 0xe0
	s_load_dwordx8 s[44:51], s[2:3], 0xc0
	s_add_i32 s72, s72, 4
	s_waitcnt lgkmcnt(0)
	v_mul_hi_u32 v1, s37, v6
	v_add_u32_e32 v1, v6, v1
	v_lshrrev_b32_e32 v1, s38, v1
	v_mul_hi_u32 v5, s40, v1
	v_add_u32_e32 v5, v1, v5
	v_lshrrev_b32_e32 v5, s41, v5
	v_mul_lo_u32 v3, v1, s36
	v_mul_lo_u32 v8, v5, s39
	v_mul_hi_u32 v9, s43, v5
	v_sub_u32_e32 v3, v6, v3
	v_sub_u32_e32 v1, v1, v8
	v_add_u32_e32 v8, v5, v9
	v_mul_lo_u32 v6, v3, s44
	v_mul_lo_u32 v7, v3, s46
	;; [unrolled: 1-line block ×6, first 2 shown]
	v_lshrrev_b32_e32 v8, s52, v8
	v_add3_u32 v0, v3, v0, v1
	v_add3_u32 v1, v7, v4, v10
	v_mul_hi_u32 v4, s54, v8
	v_add_u32_e32 v4, v8, v4
	v_add3_u32 v2, v6, v2, v9
	v_lshrrev_b32_e32 v6, s55, v4
	v_mul_lo_u32 v3, v8, s42
	v_mul_lo_u32 v4, v6, s53
	s_add_u32 s2, s2, 48
	v_sub_u32_e32 v3, v5, v3
	v_sub_u32_e32 v4, v8, v4
	s_addc_u32 s3, s3, 0
	v_mul_lo_u32 v5, v3, s50
	v_mul_lo_u32 v7, v3, s51
	;; [unrolled: 1-line block ×6, first 2 shown]
	s_cmp_lg_u32 s20, s72
	v_add3_u32 v2, v5, v2, v8
	v_add3_u32 v4, v3, v1, v4
	;; [unrolled: 1-line block ×3, first 2 shown]
	s_cbranch_scc1 .LBB0_8
; %bb.9:
	v_mov_b32_e32 v1, v4
	s_and_b32 s36, s71, 3
	s_cmp_eq_u32 s36, 0
	s_cbranch_scc0 .LBB0_11
	s_branch .LBB0_13
.LBB0_10:
	v_mov_b32_e32 v0, 0
	s_mov_b32 s20, 0
	v_mov_b32_e32 v1, v0
                                        ; implicit-def: $vgpr4
	v_mov_b32_e32 v6, v14
	v_mov_b32_e32 v2, v0
	s_and_b32 s36, s71, 3
	s_cmp_eq_u32 s36, 0
	s_cbranch_scc1 .LBB0_13
.LBB0_11:
	s_mul_i32 s2, s20, 12
	s_add_u32 s2, s27, s2
	s_addc_u32 s3, s33, 0
	s_add_u32 s2, s2, 4
	s_addc_u32 s3, s3, 0
.LBB0_12:                               ; =>This Inner Loop Header: Depth=1
	s_load_dwordx2 s[38:39], s[2:3], 0x0
	s_load_dword s20, s[2:3], 0x8
	s_load_dwordx2 s[40:41], s[2:3], 0xc0
	s_load_dword s37, s[2:3], 0xc8
	v_mov_b32_e32 v4, v1
	s_waitcnt lgkmcnt(0)
	v_mul_hi_u32 v1, s39, v6
	v_add_u32_e32 v1, v6, v1
	v_lshrrev_b32_e32 v1, s20, v1
	v_mul_lo_u32 v3, v1, s38
	s_add_u32 s2, s2, 12
	v_sub_u32_e32 v7, v6, v3
	s_addc_u32 s3, s3, 0
	s_add_i32 s36, s36, -1
	v_mov_b32_e32 v6, v1
	v_mad_u64_u32 v[4:5], s[38:39], v7, s37, v[4:5]
	v_mad_u64_u32 v[0:1], s[38:39], v7, s41, v[0:1]
	s_cmp_lg_u32 s36, 0
	v_mad_u64_u32 v[2:3], s[38:39], v7, s40, v[2:3]
	v_mov_b32_e32 v1, v4
	s_cbranch_scc1 .LBB0_12
.LBB0_13:
	s_mov_b64 s[2:3], 0
.LBB0_14:
	s_andn2_b64 vcc, exec, s[2:3]
	s_cbranch_vccnz .LBB0_17
; %bb.15:
	v_mul_hi_u32 v0, s22, v14
	v_add_u32_e32 v0, v14, v0
	v_lshrrev_b32_e32 v1, s23, v0
	v_mul_lo_u32 v0, v1, s21
	v_sub_u32_e32 v0, v14, v0
	v_mul_lo_u32 v2, v0, s28
	v_mul_lo_u32 v4, v0, s30
	s_andn2_b64 vcc, exec, s[60:61]
	v_mul_lo_u32 v0, v0, s29
	s_cbranch_vccnz .LBB0_17
; %bb.16:
	v_mul_hi_u32 v3, s25, v1
	v_add_u32_e32 v3, v1, v3
	v_lshrrev_b32_e32 v3, s26, v3
	v_mul_lo_u32 v3, v3, s24
	v_sub_u32_e32 v5, v1, v3
	v_mad_u64_u32 v[2:3], s[2:3], v5, s31, v[2:3]
	v_mad_u64_u32 v[0:1], s[2:3], v5, s34, v[0:1]
	;; [unrolled: 1-line block ×3, first 2 shown]
.LBB0_17:
	global_load_dwordx2 v[4:5], v4, s[8:9]
	v_mov_b64_e32 v[6:7], 0
	s_waitcnt vmcnt(0)
	v_cmp_lt_i64_e32 vcc, s[10:11], v[4:5]
	s_and_saveexec_b64 s[36:37], vcc
	s_cbranch_execz .LBB0_23
; %bb.18:
	v_mov_b32_e32 v1, s11
	v_subrev_co_u32_e32 v8, vcc, s10, v4
	v_mov_b32_e32 v10, 0
	s_nop 0
	v_subb_co_u32_e32 v9, vcc, v5, v1, vcc
	v_or_b32_e32 v11, s13, v9
	v_cmp_ne_u64_e32 vcc, 0, v[10:11]
                                        ; implicit-def: $vgpr6_vgpr7
	s_and_saveexec_b64 s[2:3], vcc
	s_xor_b64 s[38:39], exec, s[2:3]
	s_cbranch_execz .LBB0_20
; %bb.19:
	s_ashr_i32 s40, s13, 31
	s_add_u32 s2, s12, s40
	s_mov_b32 s41, s40
	s_addc_u32 s3, s13, s40
	s_xor_b64 s[42:43], s[2:3], s[40:41]
	v_cvt_f32_u32_e32 v1, s42
	v_cvt_f32_u32_e32 v3, s43
	s_sub_u32 s20, 0, s42
	s_subb_u32 s41, 0, s43
	v_ashrrev_i32_e32 v6, 31, v9
	v_fmamk_f32 v1, v3, 0x4f800000, v1
	v_rcp_f32_e32 v1, v1
	v_mov_b32_e32 v7, v6
	v_lshl_add_u64 v[8:9], v[8:9], 0, v[6:7]
	v_mov_b32_e32 v13, v10
	v_mul_f32_e32 v1, 0x5f7ffffc, v1
	v_mul_f32_e32 v3, 0x2f800000, v1
	v_trunc_f32_e32 v3, v3
	v_fmamk_f32 v1, v3, 0xcf800000, v1
	v_cvt_u32_f32_e32 v3, v3
	v_cvt_u32_f32_e32 v1, v1
	v_readfirstlane_b32 s44, v3
	v_readfirstlane_b32 s2, v1
	s_mul_i32 s3, s20, s44
	s_mul_hi_u32 s46, s20, s2
	s_mul_i32 s45, s41, s2
	s_add_i32 s3, s46, s3
	s_add_i32 s3, s3, s45
	s_mul_i32 s47, s20, s2
	s_mul_i32 s46, s2, s3
	s_mul_hi_u32 s48, s2, s47
	s_mul_hi_u32 s45, s2, s3
	s_add_u32 s46, s48, s46
	s_addc_u32 s45, 0, s45
	s_mul_hi_u32 s49, s44, s47
	s_mul_i32 s47, s44, s47
	s_add_u32 s46, s46, s47
	s_mul_hi_u32 s48, s44, s3
	s_addc_u32 s45, s45, s49
	s_addc_u32 s46, s48, 0
	s_mul_i32 s3, s44, s3
	s_add_u32 s3, s45, s3
	s_addc_u32 s45, 0, s46
	s_add_u32 s46, s2, s3
	s_cselect_b64 s[2:3], -1, 0
	s_cmp_lg_u64 s[2:3], 0
	s_addc_u32 s44, s44, s45
	s_mul_i32 s2, s20, s44
	s_mul_hi_u32 s3, s20, s46
	s_add_i32 s2, s3, s2
	s_mul_i32 s41, s41, s46
	s_add_i32 s2, s2, s41
	s_mul_i32 s20, s20, s46
	s_mul_hi_u32 s41, s44, s20
	s_mul_i32 s45, s44, s20
	s_mul_i32 s48, s46, s2
	s_mul_hi_u32 s20, s46, s20
	s_mul_hi_u32 s47, s46, s2
	s_add_u32 s20, s20, s48
	s_addc_u32 s47, 0, s47
	s_add_u32 s20, s20, s45
	s_mul_hi_u32 s3, s44, s2
	s_addc_u32 s20, s47, s41
	s_addc_u32 s3, s3, 0
	s_mul_i32 s2, s44, s2
	s_add_u32 s2, s20, s2
	s_addc_u32 s20, 0, s3
	s_add_u32 s41, s46, s2
	s_cselect_b64 s[2:3], -1, 0
	s_cmp_lg_u64 s[2:3], 0
	s_addc_u32 s20, s44, s20
	v_xor_b32_e32 v3, v8, v6
	v_xor_b32_e32 v1, v9, v6
	v_mad_u64_u32 v[8:9], s[2:3], v3, s20, 0
	v_mul_hi_u32 v12, v3, s41
	v_lshl_add_u64 v[8:9], v[12:13], 0, v[8:9]
	v_mad_u64_u32 v[16:17], s[2:3], v1, s41, 0
	v_add_co_u32_e32 v7, vcc, v8, v16
	v_mad_u64_u32 v[12:13], s[2:3], v1, s20, 0
	s_nop 0
	v_addc_co_u32_e32 v8, vcc, v9, v17, vcc
	v_mov_b32_e32 v9, v10
	s_nop 0
	v_addc_co_u32_e32 v13, vcc, 0, v13, vcc
	v_lshl_add_u64 v[8:9], v[8:9], 0, v[12:13]
	v_mul_lo_u32 v7, s43, v8
	v_mul_lo_u32 v12, s42, v9
	v_mad_u64_u32 v[10:11], s[2:3], s42, v8, 0
	v_add3_u32 v7, v11, v12, v7
	v_sub_u32_e32 v11, v1, v7
	v_mov_b32_e32 v12, s43
	v_sub_co_u32_e32 v3, vcc, v3, v10
	s_nop 1
	v_subb_co_u32_e64 v10, s[2:3], v11, v12, vcc
	v_subrev_co_u32_e64 v11, s[2:3], s42, v3
	v_subb_co_u32_e32 v1, vcc, v1, v7, vcc
	s_nop 0
	v_subbrev_co_u32_e64 v10, s[2:3], 0, v10, s[2:3]
	v_cmp_le_u32_e64 s[2:3], s43, v10
	v_cmp_le_u32_e32 vcc, s43, v1
	s_nop 0
	v_cndmask_b32_e64 v12, 0, -1, s[2:3]
	v_cmp_le_u32_e64 s[2:3], s42, v11
	v_cndmask_b32_e64 v7, 0, -1, vcc
	v_cmp_le_u32_e32 vcc, s42, v3
	v_cndmask_b32_e64 v11, 0, -1, s[2:3]
	v_cmp_eq_u32_e64 s[2:3], s43, v10
	v_cndmask_b32_e64 v3, 0, -1, vcc
	v_cmp_eq_u32_e32 vcc, s43, v1
	v_cndmask_b32_e64 v15, v12, v11, s[2:3]
	v_lshl_add_u64 v[10:11], v[8:9], 0, 2
	v_lshl_add_u64 v[12:13], v[8:9], 0, 1
	v_cmp_ne_u32_e64 s[2:3], 0, v15
	v_cndmask_b32_e32 v1, v7, v3, vcc
	v_cmp_ne_u32_e32 vcc, 0, v1
	v_cndmask_b32_e64 v3, v12, v10, s[2:3]
	v_cndmask_b32_e64 v11, v13, v11, s[2:3]
	v_cndmask_b32_e32 v3, v8, v3, vcc
	v_xor_b32_e32 v7, s40, v6
	v_cndmask_b32_e32 v1, v9, v11, vcc
	v_xor_b32_e32 v3, v3, v7
	v_xor_b32_e32 v1, v1, v7
	v_sub_co_u32_e32 v6, vcc, v3, v7
                                        ; implicit-def: $vgpr8
	s_nop 1
	v_subb_co_u32_e32 v7, vcc, v1, v7, vcc
.LBB0_20:
	s_andn2_saveexec_b64 s[2:3], s[38:39]
	s_cbranch_execz .LBB0_22
; %bb.21:
	v_cvt_f32_u32_e32 v1, s12
	s_sub_i32 s20, 0, s12
	v_rcp_iflag_f32_e32 v1, v1
	s_nop 0
	v_mul_f32_e32 v1, 0x4f7ffffe, v1
	v_cvt_u32_f32_e32 v1, v1
	v_mul_lo_u32 v3, s20, v1
	v_mul_hi_u32 v3, v1, v3
	v_add_u32_e32 v1, v1, v3
	v_mul_hi_u32 v1, v8, v1
	v_mul_lo_u32 v3, v1, s12
	v_sub_u32_e32 v3, v8, v3
	v_add_u32_e32 v6, 1, v1
	v_subrev_u32_e32 v7, s12, v3
	v_cmp_le_u32_e32 vcc, s12, v3
	s_nop 1
	v_cndmask_b32_e32 v3, v3, v7, vcc
	v_cndmask_b32_e32 v1, v1, v6, vcc
	v_add_u32_e32 v6, 1, v1
	v_cmp_le_u32_e32 vcc, s12, v3
	v_mov_b32_e32 v7, 0
	s_nop 0
	v_cndmask_b32_e32 v6, v1, v6, vcc
.LBB0_22:
	s_or_b64 exec, exec, s[2:3]
.LBB0_23:
	s_or_b64 exec, exec, s[36:37]
	v_or_b32_e32 v9, s13, v5
	v_mov_b32_e32 v8, 0
	v_cmp_ne_u64_e32 vcc, 0, v[8:9]
                                        ; implicit-def: $vgpr10_vgpr11
	s_and_saveexec_b64 s[2:3], vcc
	s_xor_b64 s[36:37], exec, s[2:3]
	s_cbranch_execz .LBB0_25
; %bb.24:
	s_ashr_i32 s38, s13, 31
	s_add_u32 s2, s12, s38
	s_mov_b32 s39, s38
	s_addc_u32 s3, s13, s38
	s_xor_b64 s[40:41], s[2:3], s[38:39]
	v_cvt_f32_u32_e32 v1, s40
	v_cvt_f32_u32_e32 v3, s41
	s_sub_u32 s20, 0, s40
	s_subb_u32 s39, 0, s41
	v_ashrrev_i32_e32 v10, 31, v5
	v_fmamk_f32 v1, v3, 0x4f800000, v1
	v_rcp_f32_e32 v1, v1
	v_mov_b32_e32 v11, v10
	v_lshl_add_u64 v[12:13], v[4:5], 0, v[10:11]
	v_mov_b32_e32 v17, v8
	v_mul_f32_e32 v1, 0x5f7ffffc, v1
	v_mul_f32_e32 v3, 0x2f800000, v1
	v_trunc_f32_e32 v3, v3
	v_fmamk_f32 v1, v3, 0xcf800000, v1
	v_cvt_u32_f32_e32 v3, v3
	v_cvt_u32_f32_e32 v1, v1
	v_readfirstlane_b32 s42, v3
	v_readfirstlane_b32 s2, v1
	s_mul_i32 s3, s20, s42
	s_mul_hi_u32 s44, s20, s2
	s_mul_i32 s43, s39, s2
	s_add_i32 s3, s44, s3
	s_add_i32 s3, s3, s43
	s_mul_i32 s45, s20, s2
	s_mul_i32 s44, s2, s3
	s_mul_hi_u32 s46, s2, s45
	s_mul_hi_u32 s43, s2, s3
	s_add_u32 s44, s46, s44
	s_addc_u32 s43, 0, s43
	s_mul_hi_u32 s47, s42, s45
	s_mul_i32 s45, s42, s45
	s_add_u32 s44, s44, s45
	s_mul_hi_u32 s46, s42, s3
	s_addc_u32 s43, s43, s47
	s_addc_u32 s44, s46, 0
	s_mul_i32 s3, s42, s3
	s_add_u32 s3, s43, s3
	s_addc_u32 s43, 0, s44
	s_add_u32 s44, s2, s3
	s_cselect_b64 s[2:3], -1, 0
	s_cmp_lg_u64 s[2:3], 0
	s_addc_u32 s42, s42, s43
	s_mul_i32 s2, s20, s42
	s_mul_hi_u32 s3, s20, s44
	s_add_i32 s2, s3, s2
	s_mul_i32 s39, s39, s44
	s_add_i32 s2, s2, s39
	s_mul_i32 s20, s20, s44
	s_mul_hi_u32 s39, s42, s20
	s_mul_i32 s43, s42, s20
	s_mul_i32 s46, s44, s2
	s_mul_hi_u32 s20, s44, s20
	s_mul_hi_u32 s45, s44, s2
	s_add_u32 s20, s20, s46
	s_addc_u32 s45, 0, s45
	s_add_u32 s20, s20, s43
	s_mul_hi_u32 s3, s42, s2
	s_addc_u32 s20, s45, s39
	s_addc_u32 s3, s3, 0
	s_mul_i32 s2, s42, s2
	s_add_u32 s2, s20, s2
	s_addc_u32 s20, 0, s3
	s_add_u32 s39, s44, s2
	s_cselect_b64 s[2:3], -1, 0
	s_cmp_lg_u64 s[2:3], 0
	s_addc_u32 s20, s42, s20
	v_xor_b32_e32 v3, v12, v10
	v_xor_b32_e32 v1, v13, v10
	v_mad_u64_u32 v[12:13], s[2:3], v3, s20, 0
	v_mul_hi_u32 v16, v3, s39
	v_lshl_add_u64 v[12:13], v[16:17], 0, v[12:13]
	v_mad_u64_u32 v[18:19], s[2:3], v1, s39, 0
	v_add_co_u32_e32 v9, vcc, v12, v18
	v_mad_u64_u32 v[16:17], s[2:3], v1, s20, 0
	s_nop 0
	v_addc_co_u32_e32 v12, vcc, v13, v19, vcc
	v_mov_b32_e32 v13, v8
	s_nop 0
	v_addc_co_u32_e32 v17, vcc, 0, v17, vcc
	v_lshl_add_u64 v[8:9], v[12:13], 0, v[16:17]
	v_mul_lo_u32 v11, s41, v8
	v_mul_lo_u32 v15, s40, v9
	v_mad_u64_u32 v[12:13], s[2:3], s40, v8, 0
	v_add3_u32 v11, v13, v15, v11
	v_sub_u32_e32 v13, v1, v11
	v_mov_b32_e32 v15, s41
	v_sub_co_u32_e32 v3, vcc, v3, v12
	v_lshl_add_u64 v[16:17], v[8:9], 0, 1
	s_nop 0
	v_subb_co_u32_e64 v12, s[2:3], v13, v15, vcc
	v_subrev_co_u32_e64 v13, s[2:3], s40, v3
	v_subb_co_u32_e32 v1, vcc, v1, v11, vcc
	s_nop 0
	v_subbrev_co_u32_e64 v12, s[2:3], 0, v12, s[2:3]
	v_cmp_le_u32_e64 s[2:3], s41, v12
	v_cmp_le_u32_e32 vcc, s41, v1
	s_nop 0
	v_cndmask_b32_e64 v15, 0, -1, s[2:3]
	v_cmp_le_u32_e64 s[2:3], s40, v13
	v_cndmask_b32_e64 v11, 0, -1, vcc
	v_cmp_le_u32_e32 vcc, s40, v3
	v_cndmask_b32_e64 v13, 0, -1, s[2:3]
	v_cmp_eq_u32_e64 s[2:3], s41, v12
	v_cndmask_b32_e64 v3, 0, -1, vcc
	v_cmp_eq_u32_e32 vcc, s41, v1
	v_cndmask_b32_e64 v15, v15, v13, s[2:3]
	v_lshl_add_u64 v[12:13], v[8:9], 0, 2
	v_cmp_ne_u32_e64 s[2:3], 0, v15
	v_cndmask_b32_e32 v1, v11, v3, vcc
	v_cmp_ne_u32_e32 vcc, 0, v1
	v_cndmask_b32_e64 v3, v16, v12, s[2:3]
	v_cndmask_b32_e64 v13, v17, v13, s[2:3]
	v_cndmask_b32_e32 v3, v8, v3, vcc
	v_xor_b32_e32 v8, s38, v10
	v_cndmask_b32_e32 v1, v9, v13, vcc
	v_xor_b32_e32 v3, v3, v8
	v_xor_b32_e32 v1, v1, v8
	v_sub_co_u32_e32 v10, vcc, v3, v8
	s_nop 1
	v_subb_co_u32_e32 v11, vcc, v1, v8, vcc
.LBB0_25:
	s_andn2_saveexec_b64 s[2:3], s[36:37]
	s_cbranch_execz .LBB0_27
; %bb.26:
	v_cvt_f32_u32_e32 v1, s12
	s_sub_i32 s20, 0, s12
	v_mov_b32_e32 v11, 0
	v_rcp_iflag_f32_e32 v1, v1
	s_nop 0
	v_mul_f32_e32 v1, 0x4f7ffffe, v1
	v_cvt_u32_f32_e32 v1, v1
	v_mul_lo_u32 v3, s20, v1
	v_mul_hi_u32 v3, v1, v3
	v_add_u32_e32 v1, v1, v3
	v_mul_hi_u32 v1, v4, v1
	v_mul_lo_u32 v3, v1, s12
	v_sub_u32_e32 v3, v4, v3
	v_add_u32_e32 v8, 1, v1
	v_subrev_u32_e32 v9, s12, v3
	v_cmp_le_u32_e32 vcc, s12, v3
	s_nop 1
	v_cndmask_b32_e32 v3, v3, v9, vcc
	v_cndmask_b32_e32 v1, v1, v8, vcc
	v_add_u32_e32 v8, 1, v1
	v_cmp_le_u32_e32 vcc, s12, v3
	s_nop 1
	v_cndmask_b32_e32 v10, v1, v8, vcc
.LBB0_27:
	s_or_b64 exec, exec, s[2:3]
	v_mul_lo_u32 v1, v7, s12
	v_mul_lo_u32 v3, v6, s13
	v_mad_u64_u32 v[8:9], s[2:3], v6, s12, 0
	v_add3_u32 v9, v9, v3, v1
	v_cmp_gt_i64_e32 vcc, v[8:9], v[4:5]
	v_mov_b64_e32 v[8:9], s[10:11]
	v_mad_u64_u32 v[8:9], s[2:3], v6, s12, v[8:9]
	v_add3_u32 v9, v1, v9, v3
	v_cmp_ge_i64_e64 s[2:3], v[4:5], v[8:9]
	s_or_b64 s[2:3], vcc, s[2:3]
	v_mov_b32_e32 v1, s15
	v_cndmask_b32_e64 v8, 0, 1, s[2:3]
	s_mov_b32 s2, 0
	v_mov_b32_e32 v9, s2
	v_cmp_gt_i64_e32 vcc, s[14:15], v[10:11]
	v_lshl_add_u64 v[12:13], v[6:7], 0, v[8:9]
	s_nop 0
	v_cndmask_b32_e32 v7, v1, v11, vcc
	v_mov_b32_e32 v1, s14
	v_cndmask_b32_e32 v6, v1, v10, vcc
	v_cmp_le_i64_e32 vcc, v[12:13], v[6:7]
	s_and_saveexec_b64 s[2:3], vcc
	s_cbranch_execz .LBB0_30
; %bb.28:
	global_load_ubyte v10, v2, s[4:5]
	v_mul_lo_u32 v11, s13, v12
	v_mul_lo_u32 v15, s12, v13
	v_mad_u64_u32 v[16:17], s[36:37], s12, v12, 0
	v_mov_b32_e32 v3, 0
	v_add3_u32 v11, v17, v15, v11
	v_sub_co_u32_e32 v15, vcc, v4, v16
	v_lshl_add_u64 v[8:9], s[4:5], 0, v[2:3]
	v_mov_b32_e32 v1, v3
	v_lshl_add_u64 v[2:3], v[12:13], 0, -1
	v_subb_co_u32_e32 v11, vcc, v5, v11, vcc
	v_mul_lo_u32 v16, s17, v12
	v_mul_lo_u32 v13, s16, v13
	v_mad_u64_u32 v[4:5], s[36:37], s16, v12, 0
	v_add3_u32 v5, v5, v13, v16
	v_mad_u64_u32 v[4:5], s[36:37], s18, v15, v[4:5]
	s_mul_i32 s20, s12, s19
	s_mul_hi_u32 s36, s12, s18
	v_mul_lo_u32 v11, s18, v11
	v_mul_lo_u32 v12, s19, v15
	s_add_i32 s20, s36, s20
	s_mul_i32 s36, s13, s18
	v_add3_u32 v5, v12, v5, v11
	s_add_i32 s20, s20, s36
	s_mul_i32 s36, s12, s18
	v_lshl_add_u64 v[0:1], v[4:5], 0, v[0:1]
	s_sub_u32 s36, s16, s36
	v_lshl_add_u64 v[0:1], s[6:7], 0, v[0:1]
	s_subb_u32 s37, s17, s20
	s_mov_b64 s[38:39], 0
.LBB0_29:                               ; =>This Inner Loop Header: Depth=1
	global_load_ubyte v4, v[0:1], off
	v_lshl_add_u64 v[2:3], v[2:3], 0, 1
	v_cmp_ge_i64_e32 vcc, v[2:3], v[6:7]
	v_lshl_add_u64 v[0:1], v[0:1], 0, s[36:37]
	s_or_b64 s[38:39], vcc, s[38:39]
	s_waitcnt vmcnt(0)
	v_add_u16_e32 v10, v4, v10
	global_store_byte v[8:9], v10, off
	s_andn2_b64 exec, exec, s[38:39]
	s_cbranch_execnz .LBB0_29
.LBB0_30:
	s_or_b64 exec, exec, s[2:3]
	v_add_u32_e32 v14, 0x100, v14
	s_or_b64 exec, exec, s[66:67]
	v_cmp_gt_i32_e32 vcc, s70, v14
	s_and_saveexec_b64 s[66:67], vcc
	s_cbranch_execz .LBB0_2
.LBB0_31:
	s_and_b64 vcc, exec, s[0:1]
	s_cbranch_vccnz .LBB0_37
; %bb.32:
	v_mov_b32_e32 v4, 0
	s_andn2_b64 vcc, exec, s[64:65]
	v_mov_b32_e32 v0, 0
	v_mov_b32_e32 v2, 0
	s_cbranch_vccnz .LBB0_41
; %bb.33:
	s_add_i32 s71, s69, 1
	s_cmp_eq_u32 s68, 2
	s_cbranch_scc1 .LBB0_38
; %bb.34:
	s_and_b32 s20, s71, 28
	v_mov_b32_e32 v2, 0
	s_mov_b32 s72, 0
	s_mov_b64 s[2:3], s[62:63]
	v_mov_b32_e32 v6, v14
	v_mov_b32_e32 v0, 0
	;; [unrolled: 1-line block ×3, first 2 shown]
.LBB0_35:                               ; =>This Inner Loop Header: Depth=1
	s_load_dwordx8 s[36:43], s[2:3], 0x0
	s_load_dwordx4 s[52:55], s[2:3], 0x20
	s_load_dwordx4 s[56:59], s[2:3], 0xe0
	s_load_dwordx8 s[44:51], s[2:3], 0xc0
	s_add_i32 s72, s72, 4
	s_waitcnt lgkmcnt(0)
	v_mul_hi_u32 v1, s37, v6
	v_add_u32_e32 v1, v6, v1
	v_lshrrev_b32_e32 v1, s38, v1
	v_mul_hi_u32 v5, s40, v1
	v_add_u32_e32 v5, v1, v5
	v_lshrrev_b32_e32 v5, s41, v5
	v_mul_lo_u32 v3, v1, s36
	v_mul_lo_u32 v8, v5, s39
	v_mul_hi_u32 v9, s43, v5
	v_sub_u32_e32 v3, v6, v3
	v_sub_u32_e32 v1, v1, v8
	v_add_u32_e32 v8, v5, v9
	v_mul_lo_u32 v6, v3, s44
	v_mul_lo_u32 v7, v3, s46
	;; [unrolled: 1-line block ×6, first 2 shown]
	v_lshrrev_b32_e32 v8, s52, v8
	v_add3_u32 v0, v3, v0, v1
	v_add3_u32 v1, v7, v4, v10
	v_mul_hi_u32 v4, s54, v8
	v_add_u32_e32 v4, v8, v4
	v_add3_u32 v2, v6, v2, v9
	v_lshrrev_b32_e32 v6, s55, v4
	v_mul_lo_u32 v3, v8, s42
	v_mul_lo_u32 v4, v6, s53
	s_add_u32 s2, s2, 48
	v_sub_u32_e32 v3, v5, v3
	v_sub_u32_e32 v4, v8, v4
	s_addc_u32 s3, s3, 0
	v_mul_lo_u32 v5, v3, s50
	v_mul_lo_u32 v7, v3, s51
	;; [unrolled: 1-line block ×6, first 2 shown]
	s_cmp_eq_u32 s20, s72
	v_add3_u32 v2, v5, v2, v8
	v_add3_u32 v4, v3, v1, v4
	;; [unrolled: 1-line block ×3, first 2 shown]
	s_cbranch_scc0 .LBB0_35
; %bb.36:
	v_mov_b32_e32 v1, v4
	s_and_b32 s36, s71, 3
	s_cmp_eq_u32 s36, 0
	s_cbranch_scc0 .LBB0_39
	s_branch .LBB0_41
.LBB0_37:
                                        ; implicit-def: $vgpr4
                                        ; implicit-def: $vgpr0
                                        ; implicit-def: $vgpr2
	s_branch .LBB0_42
.LBB0_38:
	v_mov_b32_e32 v0, 0
	s_mov_b32 s20, 0
	v_mov_b32_e32 v1, v0
                                        ; implicit-def: $vgpr4
	v_mov_b32_e32 v6, v14
	v_mov_b32_e32 v2, v0
	s_and_b32 s36, s71, 3
	s_cmp_eq_u32 s36, 0
	s_cbranch_scc1 .LBB0_41
.LBB0_39:
	s_mul_i32 s2, s20, 12
	s_add_u32 s2, s27, s2
	s_addc_u32 s3, s33, 0
	s_add_u32 s2, s2, 4
	s_addc_u32 s3, s3, 0
.LBB0_40:                               ; =>This Inner Loop Header: Depth=1
	s_load_dwordx2 s[38:39], s[2:3], 0x0
	s_load_dword s20, s[2:3], 0x8
	s_load_dwordx2 s[40:41], s[2:3], 0xc0
	s_load_dword s37, s[2:3], 0xc8
	v_mov_b32_e32 v4, v1
	s_waitcnt lgkmcnt(0)
	v_mul_hi_u32 v1, s39, v6
	v_add_u32_e32 v1, v6, v1
	v_lshrrev_b32_e32 v1, s20, v1
	v_mul_lo_u32 v3, v1, s38
	s_add_u32 s2, s2, 12
	v_sub_u32_e32 v7, v6, v3
	s_addc_u32 s3, s3, 0
	s_add_i32 s36, s36, -1
	v_mov_b32_e32 v6, v1
	v_mad_u64_u32 v[4:5], s[38:39], v7, s37, v[4:5]
	v_mad_u64_u32 v[0:1], s[38:39], v7, s41, v[0:1]
	s_cmp_lg_u32 s36, 0
	v_mad_u64_u32 v[2:3], s[38:39], v7, s40, v[2:3]
	v_mov_b32_e32 v1, v4
	s_cbranch_scc1 .LBB0_40
.LBB0_41:
	s_cbranch_execnz .LBB0_44
.LBB0_42:
	v_mul_hi_u32 v0, s22, v14
	v_add_u32_e32 v0, v14, v0
	v_lshrrev_b32_e32 v1, s23, v0
	v_mul_lo_u32 v0, v1, s21
	v_sub_u32_e32 v0, v14, v0
	v_mul_lo_u32 v2, v0, s28
	v_mul_lo_u32 v4, v0, s30
	s_andn2_b64 vcc, exec, s[60:61]
	v_mul_lo_u32 v0, v0, s29
	s_cbranch_vccnz .LBB0_44
; %bb.43:
	v_mul_hi_u32 v3, s25, v1
	v_add_u32_e32 v3, v1, v3
	v_lshrrev_b32_e32 v3, s26, v3
	v_mul_lo_u32 v3, v3, s24
	v_sub_u32_e32 v5, v1, v3
	v_mad_u64_u32 v[2:3], s[2:3], v5, s31, v[2:3]
	v_mad_u64_u32 v[0:1], s[2:3], v5, s34, v[0:1]
	;; [unrolled: 1-line block ×3, first 2 shown]
.LBB0_44:
	global_load_dwordx2 v[4:5], v4, s[8:9]
	v_mov_b64_e32 v[6:7], 0
	s_waitcnt vmcnt(0)
	v_cmp_lt_i64_e32 vcc, s[10:11], v[4:5]
	s_and_saveexec_b64 s[36:37], vcc
	s_cbranch_execz .LBB0_50
; %bb.45:
	v_mov_b32_e32 v1, s11
	v_subrev_co_u32_e32 v8, vcc, s10, v4
	v_mov_b32_e32 v10, 0
	s_nop 0
	v_subb_co_u32_e32 v9, vcc, v5, v1, vcc
	v_or_b32_e32 v11, s13, v9
	v_cmp_ne_u64_e32 vcc, 0, v[10:11]
                                        ; implicit-def: $vgpr6_vgpr7
	s_and_saveexec_b64 s[2:3], vcc
	s_xor_b64 s[38:39], exec, s[2:3]
	s_cbranch_execz .LBB0_47
; %bb.46:
	s_ashr_i32 s40, s13, 31
	s_add_u32 s2, s12, s40
	s_mov_b32 s41, s40
	s_addc_u32 s3, s13, s40
	s_xor_b64 s[42:43], s[2:3], s[40:41]
	v_cvt_f32_u32_e32 v1, s42
	v_cvt_f32_u32_e32 v3, s43
	s_sub_u32 s20, 0, s42
	s_subb_u32 s41, 0, s43
	v_ashrrev_i32_e32 v6, 31, v9
	v_fmamk_f32 v1, v3, 0x4f800000, v1
	v_rcp_f32_e32 v1, v1
	v_mov_b32_e32 v7, v6
	v_lshl_add_u64 v[8:9], v[8:9], 0, v[6:7]
	v_mov_b32_e32 v13, v10
	v_mul_f32_e32 v1, 0x5f7ffffc, v1
	v_mul_f32_e32 v3, 0x2f800000, v1
	v_trunc_f32_e32 v3, v3
	v_fmamk_f32 v1, v3, 0xcf800000, v1
	v_cvt_u32_f32_e32 v3, v3
	v_cvt_u32_f32_e32 v1, v1
	v_readfirstlane_b32 s44, v3
	v_readfirstlane_b32 s2, v1
	s_mul_i32 s3, s20, s44
	s_mul_hi_u32 s46, s20, s2
	s_mul_i32 s45, s41, s2
	s_add_i32 s3, s46, s3
	s_add_i32 s3, s3, s45
	s_mul_i32 s47, s20, s2
	s_mul_i32 s46, s2, s3
	s_mul_hi_u32 s48, s2, s47
	s_mul_hi_u32 s45, s2, s3
	s_add_u32 s46, s48, s46
	s_addc_u32 s45, 0, s45
	s_mul_hi_u32 s49, s44, s47
	s_mul_i32 s47, s44, s47
	s_add_u32 s46, s46, s47
	s_mul_hi_u32 s48, s44, s3
	s_addc_u32 s45, s45, s49
	s_addc_u32 s46, s48, 0
	s_mul_i32 s3, s44, s3
	s_add_u32 s3, s45, s3
	s_addc_u32 s45, 0, s46
	s_add_u32 s46, s2, s3
	s_cselect_b64 s[2:3], -1, 0
	s_cmp_lg_u64 s[2:3], 0
	s_addc_u32 s44, s44, s45
	s_mul_i32 s2, s20, s44
	s_mul_hi_u32 s3, s20, s46
	s_add_i32 s2, s3, s2
	s_mul_i32 s41, s41, s46
	s_add_i32 s2, s2, s41
	s_mul_i32 s20, s20, s46
	s_mul_hi_u32 s41, s44, s20
	s_mul_i32 s45, s44, s20
	s_mul_i32 s48, s46, s2
	s_mul_hi_u32 s20, s46, s20
	s_mul_hi_u32 s47, s46, s2
	s_add_u32 s20, s20, s48
	s_addc_u32 s47, 0, s47
	s_add_u32 s20, s20, s45
	s_mul_hi_u32 s3, s44, s2
	s_addc_u32 s20, s47, s41
	s_addc_u32 s3, s3, 0
	s_mul_i32 s2, s44, s2
	s_add_u32 s2, s20, s2
	s_addc_u32 s20, 0, s3
	s_add_u32 s41, s46, s2
	s_cselect_b64 s[2:3], -1, 0
	s_cmp_lg_u64 s[2:3], 0
	s_addc_u32 s20, s44, s20
	v_xor_b32_e32 v3, v8, v6
	v_xor_b32_e32 v1, v9, v6
	v_mad_u64_u32 v[8:9], s[2:3], v3, s20, 0
	v_mul_hi_u32 v12, v3, s41
	v_lshl_add_u64 v[8:9], v[12:13], 0, v[8:9]
	v_mad_u64_u32 v[16:17], s[2:3], v1, s41, 0
	v_add_co_u32_e32 v7, vcc, v8, v16
	v_mad_u64_u32 v[12:13], s[2:3], v1, s20, 0
	s_nop 0
	v_addc_co_u32_e32 v8, vcc, v9, v17, vcc
	v_mov_b32_e32 v9, v10
	s_nop 0
	v_addc_co_u32_e32 v13, vcc, 0, v13, vcc
	v_lshl_add_u64 v[8:9], v[8:9], 0, v[12:13]
	v_mul_lo_u32 v7, s43, v8
	v_mul_lo_u32 v12, s42, v9
	v_mad_u64_u32 v[10:11], s[2:3], s42, v8, 0
	v_add3_u32 v7, v11, v12, v7
	v_sub_u32_e32 v11, v1, v7
	v_mov_b32_e32 v12, s43
	v_sub_co_u32_e32 v3, vcc, v3, v10
	s_nop 1
	v_subb_co_u32_e64 v10, s[2:3], v11, v12, vcc
	v_subrev_co_u32_e64 v11, s[2:3], s42, v3
	v_subb_co_u32_e32 v1, vcc, v1, v7, vcc
	s_nop 0
	v_subbrev_co_u32_e64 v10, s[2:3], 0, v10, s[2:3]
	v_cmp_le_u32_e64 s[2:3], s43, v10
	v_cmp_le_u32_e32 vcc, s43, v1
	s_nop 0
	v_cndmask_b32_e64 v12, 0, -1, s[2:3]
	v_cmp_le_u32_e64 s[2:3], s42, v11
	v_cndmask_b32_e64 v7, 0, -1, vcc
	v_cmp_le_u32_e32 vcc, s42, v3
	v_cndmask_b32_e64 v11, 0, -1, s[2:3]
	v_cmp_eq_u32_e64 s[2:3], s43, v10
	v_cndmask_b32_e64 v3, 0, -1, vcc
	v_cmp_eq_u32_e32 vcc, s43, v1
	v_cndmask_b32_e64 v15, v12, v11, s[2:3]
	v_lshl_add_u64 v[10:11], v[8:9], 0, 2
	v_lshl_add_u64 v[12:13], v[8:9], 0, 1
	v_cmp_ne_u32_e64 s[2:3], 0, v15
	v_cndmask_b32_e32 v1, v7, v3, vcc
	v_cmp_ne_u32_e32 vcc, 0, v1
	v_cndmask_b32_e64 v3, v12, v10, s[2:3]
	v_cndmask_b32_e64 v11, v13, v11, s[2:3]
	v_cndmask_b32_e32 v3, v8, v3, vcc
	v_xor_b32_e32 v7, s40, v6
	v_cndmask_b32_e32 v1, v9, v11, vcc
	v_xor_b32_e32 v3, v3, v7
	v_xor_b32_e32 v1, v1, v7
	v_sub_co_u32_e32 v6, vcc, v3, v7
                                        ; implicit-def: $vgpr8
	s_nop 1
	v_subb_co_u32_e32 v7, vcc, v1, v7, vcc
.LBB0_47:
	s_andn2_saveexec_b64 s[2:3], s[38:39]
	s_cbranch_execz .LBB0_49
; %bb.48:
	v_cvt_f32_u32_e32 v1, s12
	s_sub_i32 s20, 0, s12
	v_rcp_iflag_f32_e32 v1, v1
	s_nop 0
	v_mul_f32_e32 v1, 0x4f7ffffe, v1
	v_cvt_u32_f32_e32 v1, v1
	v_mul_lo_u32 v3, s20, v1
	v_mul_hi_u32 v3, v1, v3
	v_add_u32_e32 v1, v1, v3
	v_mul_hi_u32 v1, v8, v1
	v_mul_lo_u32 v3, v1, s12
	v_sub_u32_e32 v3, v8, v3
	v_add_u32_e32 v6, 1, v1
	v_subrev_u32_e32 v7, s12, v3
	v_cmp_le_u32_e32 vcc, s12, v3
	s_nop 1
	v_cndmask_b32_e32 v3, v3, v7, vcc
	v_cndmask_b32_e32 v1, v1, v6, vcc
	v_add_u32_e32 v6, 1, v1
	v_cmp_le_u32_e32 vcc, s12, v3
	v_mov_b32_e32 v7, 0
	s_nop 0
	v_cndmask_b32_e32 v6, v1, v6, vcc
.LBB0_49:
	s_or_b64 exec, exec, s[2:3]
.LBB0_50:
	s_or_b64 exec, exec, s[36:37]
	v_or_b32_e32 v9, s13, v5
	v_mov_b32_e32 v8, 0
	v_cmp_ne_u64_e32 vcc, 0, v[8:9]
                                        ; implicit-def: $vgpr10_vgpr11
	s_and_saveexec_b64 s[2:3], vcc
	s_xor_b64 s[36:37], exec, s[2:3]
	s_cbranch_execz .LBB0_52
; %bb.51:
	s_ashr_i32 s38, s13, 31
	s_add_u32 s2, s12, s38
	s_mov_b32 s39, s38
	s_addc_u32 s3, s13, s38
	s_xor_b64 s[40:41], s[2:3], s[38:39]
	v_cvt_f32_u32_e32 v1, s40
	v_cvt_f32_u32_e32 v3, s41
	s_sub_u32 s20, 0, s40
	s_subb_u32 s39, 0, s41
	v_ashrrev_i32_e32 v10, 31, v5
	v_fmamk_f32 v1, v3, 0x4f800000, v1
	v_rcp_f32_e32 v1, v1
	v_mov_b32_e32 v11, v10
	v_lshl_add_u64 v[12:13], v[4:5], 0, v[10:11]
	v_mov_b32_e32 v17, v8
	v_mul_f32_e32 v1, 0x5f7ffffc, v1
	v_mul_f32_e32 v3, 0x2f800000, v1
	v_trunc_f32_e32 v3, v3
	v_fmamk_f32 v1, v3, 0xcf800000, v1
	v_cvt_u32_f32_e32 v3, v3
	v_cvt_u32_f32_e32 v1, v1
	v_readfirstlane_b32 s42, v3
	v_readfirstlane_b32 s2, v1
	s_mul_i32 s3, s20, s42
	s_mul_hi_u32 s44, s20, s2
	s_mul_i32 s43, s39, s2
	s_add_i32 s3, s44, s3
	s_add_i32 s3, s3, s43
	s_mul_i32 s45, s20, s2
	s_mul_i32 s44, s2, s3
	s_mul_hi_u32 s46, s2, s45
	s_mul_hi_u32 s43, s2, s3
	s_add_u32 s44, s46, s44
	s_addc_u32 s43, 0, s43
	s_mul_hi_u32 s47, s42, s45
	s_mul_i32 s45, s42, s45
	s_add_u32 s44, s44, s45
	s_mul_hi_u32 s46, s42, s3
	s_addc_u32 s43, s43, s47
	s_addc_u32 s44, s46, 0
	s_mul_i32 s3, s42, s3
	s_add_u32 s3, s43, s3
	s_addc_u32 s43, 0, s44
	s_add_u32 s44, s2, s3
	s_cselect_b64 s[2:3], -1, 0
	s_cmp_lg_u64 s[2:3], 0
	s_addc_u32 s42, s42, s43
	s_mul_i32 s2, s20, s42
	s_mul_hi_u32 s3, s20, s44
	s_add_i32 s2, s3, s2
	s_mul_i32 s39, s39, s44
	s_add_i32 s2, s2, s39
	s_mul_i32 s20, s20, s44
	s_mul_hi_u32 s39, s42, s20
	s_mul_i32 s43, s42, s20
	s_mul_i32 s46, s44, s2
	s_mul_hi_u32 s20, s44, s20
	s_mul_hi_u32 s45, s44, s2
	s_add_u32 s20, s20, s46
	s_addc_u32 s45, 0, s45
	s_add_u32 s20, s20, s43
	s_mul_hi_u32 s3, s42, s2
	s_addc_u32 s20, s45, s39
	s_addc_u32 s3, s3, 0
	s_mul_i32 s2, s42, s2
	s_add_u32 s2, s20, s2
	s_addc_u32 s20, 0, s3
	s_add_u32 s39, s44, s2
	s_cselect_b64 s[2:3], -1, 0
	s_cmp_lg_u64 s[2:3], 0
	s_addc_u32 s20, s42, s20
	v_xor_b32_e32 v3, v12, v10
	v_xor_b32_e32 v1, v13, v10
	v_mad_u64_u32 v[12:13], s[2:3], v3, s20, 0
	v_mul_hi_u32 v16, v3, s39
	v_lshl_add_u64 v[12:13], v[16:17], 0, v[12:13]
	v_mad_u64_u32 v[18:19], s[2:3], v1, s39, 0
	v_add_co_u32_e32 v9, vcc, v12, v18
	v_mad_u64_u32 v[16:17], s[2:3], v1, s20, 0
	s_nop 0
	v_addc_co_u32_e32 v12, vcc, v13, v19, vcc
	v_mov_b32_e32 v13, v8
	s_nop 0
	v_addc_co_u32_e32 v17, vcc, 0, v17, vcc
	v_lshl_add_u64 v[8:9], v[12:13], 0, v[16:17]
	v_mul_lo_u32 v11, s41, v8
	v_mul_lo_u32 v15, s40, v9
	v_mad_u64_u32 v[12:13], s[2:3], s40, v8, 0
	v_add3_u32 v11, v13, v15, v11
	v_sub_u32_e32 v13, v1, v11
	v_mov_b32_e32 v15, s41
	v_sub_co_u32_e32 v3, vcc, v3, v12
	v_lshl_add_u64 v[16:17], v[8:9], 0, 1
	s_nop 0
	v_subb_co_u32_e64 v12, s[2:3], v13, v15, vcc
	v_subrev_co_u32_e64 v13, s[2:3], s40, v3
	v_subb_co_u32_e32 v1, vcc, v1, v11, vcc
	s_nop 0
	v_subbrev_co_u32_e64 v12, s[2:3], 0, v12, s[2:3]
	v_cmp_le_u32_e64 s[2:3], s41, v12
	v_cmp_le_u32_e32 vcc, s41, v1
	s_nop 0
	v_cndmask_b32_e64 v15, 0, -1, s[2:3]
	v_cmp_le_u32_e64 s[2:3], s40, v13
	v_cndmask_b32_e64 v11, 0, -1, vcc
	v_cmp_le_u32_e32 vcc, s40, v3
	v_cndmask_b32_e64 v13, 0, -1, s[2:3]
	v_cmp_eq_u32_e64 s[2:3], s41, v12
	v_cndmask_b32_e64 v3, 0, -1, vcc
	v_cmp_eq_u32_e32 vcc, s41, v1
	v_cndmask_b32_e64 v15, v15, v13, s[2:3]
	v_lshl_add_u64 v[12:13], v[8:9], 0, 2
	v_cmp_ne_u32_e64 s[2:3], 0, v15
	v_cndmask_b32_e32 v1, v11, v3, vcc
	v_cmp_ne_u32_e32 vcc, 0, v1
	v_cndmask_b32_e64 v3, v16, v12, s[2:3]
	v_cndmask_b32_e64 v13, v17, v13, s[2:3]
	v_cndmask_b32_e32 v3, v8, v3, vcc
	v_xor_b32_e32 v8, s38, v10
	v_cndmask_b32_e32 v1, v9, v13, vcc
	v_xor_b32_e32 v3, v3, v8
	v_xor_b32_e32 v1, v1, v8
	v_sub_co_u32_e32 v10, vcc, v3, v8
	s_nop 1
	v_subb_co_u32_e32 v11, vcc, v1, v8, vcc
.LBB0_52:
	s_andn2_saveexec_b64 s[2:3], s[36:37]
	s_cbranch_execz .LBB0_54
; %bb.53:
	v_cvt_f32_u32_e32 v1, s12
	s_sub_i32 s20, 0, s12
	v_mov_b32_e32 v11, 0
	v_rcp_iflag_f32_e32 v1, v1
	s_nop 0
	v_mul_f32_e32 v1, 0x4f7ffffe, v1
	v_cvt_u32_f32_e32 v1, v1
	v_mul_lo_u32 v3, s20, v1
	v_mul_hi_u32 v3, v1, v3
	v_add_u32_e32 v1, v1, v3
	v_mul_hi_u32 v1, v4, v1
	v_mul_lo_u32 v3, v1, s12
	v_sub_u32_e32 v3, v4, v3
	v_add_u32_e32 v8, 1, v1
	v_subrev_u32_e32 v9, s12, v3
	v_cmp_le_u32_e32 vcc, s12, v3
	s_nop 1
	v_cndmask_b32_e32 v3, v3, v9, vcc
	v_cndmask_b32_e32 v1, v1, v8, vcc
	v_add_u32_e32 v8, 1, v1
	v_cmp_le_u32_e32 vcc, s12, v3
	s_nop 1
	v_cndmask_b32_e32 v10, v1, v8, vcc
.LBB0_54:
	s_or_b64 exec, exec, s[2:3]
	v_mul_lo_u32 v1, v7, s12
	v_mul_lo_u32 v3, v6, s13
	v_mad_u64_u32 v[8:9], s[2:3], v6, s12, 0
	v_add3_u32 v9, v9, v3, v1
	v_cmp_gt_i64_e32 vcc, v[8:9], v[4:5]
	v_mov_b64_e32 v[8:9], s[10:11]
	v_mad_u64_u32 v[8:9], s[2:3], v6, s12, v[8:9]
	v_add3_u32 v9, v1, v9, v3
	v_cmp_ge_i64_e64 s[2:3], v[4:5], v[8:9]
	s_or_b64 s[2:3], vcc, s[2:3]
	v_mov_b32_e32 v1, s15
	v_cndmask_b32_e64 v8, 0, 1, s[2:3]
	s_mov_b32 s2, 0
	v_mov_b32_e32 v9, s2
	v_cmp_gt_i64_e32 vcc, s[14:15], v[10:11]
	v_lshl_add_u64 v[12:13], v[6:7], 0, v[8:9]
	s_nop 0
	v_cndmask_b32_e32 v7, v1, v11, vcc
	v_mov_b32_e32 v1, s14
	v_cndmask_b32_e32 v6, v1, v10, vcc
	v_cmp_le_i64_e32 vcc, v[12:13], v[6:7]
	s_and_saveexec_b64 s[2:3], vcc
	s_cbranch_execz .LBB0_57
; %bb.55:
	global_load_ubyte v10, v2, s[4:5]
	v_mul_lo_u32 v11, s13, v12
	v_mul_lo_u32 v15, s12, v13
	v_mad_u64_u32 v[16:17], s[36:37], s12, v12, 0
	v_mov_b32_e32 v3, 0
	v_add3_u32 v11, v17, v15, v11
	v_sub_co_u32_e32 v15, vcc, v4, v16
	v_lshl_add_u64 v[8:9], s[4:5], 0, v[2:3]
	v_mov_b32_e32 v1, v3
	v_lshl_add_u64 v[2:3], v[12:13], 0, -1
	v_subb_co_u32_e32 v11, vcc, v5, v11, vcc
	v_mul_lo_u32 v16, s17, v12
	v_mul_lo_u32 v13, s16, v13
	v_mad_u64_u32 v[4:5], s[36:37], s16, v12, 0
	v_add3_u32 v5, v5, v13, v16
	v_mad_u64_u32 v[4:5], s[36:37], s18, v15, v[4:5]
	s_mul_i32 s20, s12, s19
	s_mul_hi_u32 s36, s12, s18
	v_mul_lo_u32 v11, s18, v11
	v_mul_lo_u32 v12, s19, v15
	s_add_i32 s20, s36, s20
	s_mul_i32 s36, s13, s18
	v_add3_u32 v5, v12, v5, v11
	s_add_i32 s20, s20, s36
	s_mul_i32 s36, s12, s18
	v_lshl_add_u64 v[0:1], v[4:5], 0, v[0:1]
	s_sub_u32 s36, s16, s36
	v_lshl_add_u64 v[0:1], s[6:7], 0, v[0:1]
	s_subb_u32 s37, s17, s20
	s_mov_b64 s[38:39], 0
.LBB0_56:                               ; =>This Inner Loop Header: Depth=1
	global_load_ubyte v4, v[0:1], off
	v_lshl_add_u64 v[2:3], v[2:3], 0, 1
	v_cmp_ge_i64_e32 vcc, v[2:3], v[6:7]
	v_lshl_add_u64 v[0:1], v[0:1], 0, s[36:37]
	s_or_b64 s[38:39], vcc, s[38:39]
	s_waitcnt vmcnt(0)
	v_add_u16_e32 v10, v4, v10
	global_store_byte v[8:9], v10, off
	s_andn2_b64 exec, exec, s[38:39]
	s_cbranch_execnz .LBB0_56
.LBB0_57:
	s_or_b64 exec, exec, s[2:3]
	v_add_u32_e32 v14, 0x100, v14
	s_or_b64 exec, exec, s[66:67]
	v_cmp_gt_i32_e32 vcc, s70, v14
	s_and_saveexec_b64 s[66:67], vcc
	s_cbranch_execz .LBB0_3
.LBB0_58:
	s_and_b64 vcc, exec, s[0:1]
	s_cbranch_vccnz .LBB0_64
; %bb.59:
	v_mov_b32_e32 v4, 0
	s_andn2_b64 vcc, exec, s[64:65]
	v_mov_b32_e32 v0, 0
	v_mov_b32_e32 v2, 0
	s_cbranch_vccnz .LBB0_68
; %bb.60:
	s_add_i32 s71, s69, 1
	s_cmp_eq_u32 s68, 2
	s_cbranch_scc1 .LBB0_65
; %bb.61:
	s_and_b32 s20, s71, 28
	v_mov_b32_e32 v2, 0
	s_mov_b32 s72, 0
	s_mov_b64 s[2:3], s[62:63]
	v_mov_b32_e32 v6, v14
	v_mov_b32_e32 v0, 0
	v_mov_b32_e32 v4, 0
.LBB0_62:                               ; =>This Inner Loop Header: Depth=1
	s_load_dwordx8 s[36:43], s[2:3], 0x0
	s_load_dwordx4 s[52:55], s[2:3], 0x20
	s_load_dwordx4 s[56:59], s[2:3], 0xe0
	s_load_dwordx8 s[44:51], s[2:3], 0xc0
	s_add_i32 s72, s72, 4
	s_waitcnt lgkmcnt(0)
	v_mul_hi_u32 v1, s37, v6
	v_add_u32_e32 v1, v6, v1
	v_lshrrev_b32_e32 v1, s38, v1
	v_mul_hi_u32 v5, s40, v1
	v_add_u32_e32 v5, v1, v5
	v_lshrrev_b32_e32 v5, s41, v5
	v_mul_lo_u32 v3, v1, s36
	v_mul_lo_u32 v8, v5, s39
	v_mul_hi_u32 v9, s43, v5
	v_sub_u32_e32 v3, v6, v3
	v_sub_u32_e32 v1, v1, v8
	v_add_u32_e32 v8, v5, v9
	v_mul_lo_u32 v6, v3, s44
	v_mul_lo_u32 v7, v3, s46
	v_mul_lo_u32 v3, v3, s45
	v_mul_lo_u32 v9, v1, s47
	v_mul_lo_u32 v10, v1, s49
	v_mul_lo_u32 v1, v1, s48
	v_lshrrev_b32_e32 v8, s52, v8
	v_add3_u32 v0, v3, v0, v1
	v_add3_u32 v1, v7, v4, v10
	v_mul_hi_u32 v4, s54, v8
	v_add_u32_e32 v4, v8, v4
	v_add3_u32 v2, v6, v2, v9
	v_lshrrev_b32_e32 v6, s55, v4
	v_mul_lo_u32 v3, v8, s42
	v_mul_lo_u32 v4, v6, s53
	s_add_u32 s2, s2, 48
	v_sub_u32_e32 v3, v5, v3
	v_sub_u32_e32 v4, v8, v4
	s_addc_u32 s3, s3, 0
	v_mul_lo_u32 v5, v3, s50
	v_mul_lo_u32 v7, v3, s51
	;; [unrolled: 1-line block ×6, first 2 shown]
	s_cmp_eq_u32 s20, s72
	v_add3_u32 v2, v5, v2, v8
	v_add3_u32 v4, v3, v1, v4
	;; [unrolled: 1-line block ×3, first 2 shown]
	s_cbranch_scc0 .LBB0_62
; %bb.63:
	v_mov_b32_e32 v1, v4
	s_and_b32 s36, s71, 3
	s_cmp_eq_u32 s36, 0
	s_cbranch_scc0 .LBB0_66
	s_branch .LBB0_68
.LBB0_64:
                                        ; implicit-def: $vgpr4
                                        ; implicit-def: $vgpr0
                                        ; implicit-def: $vgpr2
	s_branch .LBB0_69
.LBB0_65:
	v_mov_b32_e32 v0, 0
	s_mov_b32 s20, 0
	v_mov_b32_e32 v1, v0
                                        ; implicit-def: $vgpr4
	v_mov_b32_e32 v6, v14
	v_mov_b32_e32 v2, v0
	s_and_b32 s36, s71, 3
	s_cmp_eq_u32 s36, 0
	s_cbranch_scc1 .LBB0_68
.LBB0_66:
	s_mul_i32 s2, s20, 12
	s_add_u32 s2, s27, s2
	s_addc_u32 s3, s33, 0
	s_add_u32 s2, s2, 4
	s_addc_u32 s3, s3, 0
.LBB0_67:                               ; =>This Inner Loop Header: Depth=1
	s_load_dwordx2 s[38:39], s[2:3], 0x0
	s_load_dword s20, s[2:3], 0x8
	s_load_dwordx2 s[40:41], s[2:3], 0xc0
	s_load_dword s37, s[2:3], 0xc8
	v_mov_b32_e32 v4, v1
	s_waitcnt lgkmcnt(0)
	v_mul_hi_u32 v1, s39, v6
	v_add_u32_e32 v1, v6, v1
	v_lshrrev_b32_e32 v1, s20, v1
	v_mul_lo_u32 v3, v1, s38
	s_add_u32 s2, s2, 12
	v_sub_u32_e32 v7, v6, v3
	s_addc_u32 s3, s3, 0
	s_add_i32 s36, s36, -1
	v_mov_b32_e32 v6, v1
	v_mad_u64_u32 v[4:5], s[38:39], v7, s37, v[4:5]
	v_mad_u64_u32 v[0:1], s[38:39], v7, s41, v[0:1]
	s_cmp_lg_u32 s36, 0
	v_mad_u64_u32 v[2:3], s[38:39], v7, s40, v[2:3]
	v_mov_b32_e32 v1, v4
	s_cbranch_scc1 .LBB0_67
.LBB0_68:
	s_cbranch_execnz .LBB0_71
.LBB0_69:
	v_mul_hi_u32 v0, s22, v14
	v_add_u32_e32 v0, v14, v0
	v_lshrrev_b32_e32 v1, s23, v0
	v_mul_lo_u32 v0, v1, s21
	v_sub_u32_e32 v0, v14, v0
	v_mul_lo_u32 v2, v0, s28
	v_mul_lo_u32 v4, v0, s30
	s_andn2_b64 vcc, exec, s[60:61]
	v_mul_lo_u32 v0, v0, s29
	s_cbranch_vccnz .LBB0_71
; %bb.70:
	v_mul_hi_u32 v3, s25, v1
	v_add_u32_e32 v3, v1, v3
	v_lshrrev_b32_e32 v3, s26, v3
	v_mul_lo_u32 v3, v3, s24
	v_sub_u32_e32 v5, v1, v3
	v_mad_u64_u32 v[2:3], s[2:3], v5, s31, v[2:3]
	v_mad_u64_u32 v[0:1], s[2:3], v5, s34, v[0:1]
	;; [unrolled: 1-line block ×3, first 2 shown]
.LBB0_71:
	global_load_dwordx2 v[4:5], v4, s[8:9]
	v_mov_b64_e32 v[6:7], 0
	s_waitcnt vmcnt(0)
	v_cmp_lt_i64_e32 vcc, s[10:11], v[4:5]
	s_and_saveexec_b64 s[36:37], vcc
	s_cbranch_execz .LBB0_77
; %bb.72:
	v_mov_b32_e32 v1, s11
	v_subrev_co_u32_e32 v8, vcc, s10, v4
	v_mov_b32_e32 v10, 0
	s_nop 0
	v_subb_co_u32_e32 v9, vcc, v5, v1, vcc
	v_or_b32_e32 v11, s13, v9
	v_cmp_ne_u64_e32 vcc, 0, v[10:11]
                                        ; implicit-def: $vgpr6_vgpr7
	s_and_saveexec_b64 s[2:3], vcc
	s_xor_b64 s[38:39], exec, s[2:3]
	s_cbranch_execz .LBB0_74
; %bb.73:
	s_ashr_i32 s40, s13, 31
	s_add_u32 s2, s12, s40
	s_mov_b32 s41, s40
	s_addc_u32 s3, s13, s40
	s_xor_b64 s[42:43], s[2:3], s[40:41]
	v_cvt_f32_u32_e32 v1, s42
	v_cvt_f32_u32_e32 v3, s43
	s_sub_u32 s20, 0, s42
	s_subb_u32 s41, 0, s43
	v_ashrrev_i32_e32 v6, 31, v9
	v_fmamk_f32 v1, v3, 0x4f800000, v1
	v_rcp_f32_e32 v1, v1
	v_mov_b32_e32 v7, v6
	v_lshl_add_u64 v[8:9], v[8:9], 0, v[6:7]
	v_mov_b32_e32 v13, v10
	v_mul_f32_e32 v1, 0x5f7ffffc, v1
	v_mul_f32_e32 v3, 0x2f800000, v1
	v_trunc_f32_e32 v3, v3
	v_fmamk_f32 v1, v3, 0xcf800000, v1
	v_cvt_u32_f32_e32 v3, v3
	v_cvt_u32_f32_e32 v1, v1
	v_readfirstlane_b32 s44, v3
	v_readfirstlane_b32 s2, v1
	s_mul_i32 s3, s20, s44
	s_mul_hi_u32 s46, s20, s2
	s_mul_i32 s45, s41, s2
	s_add_i32 s3, s46, s3
	s_add_i32 s3, s3, s45
	s_mul_i32 s47, s20, s2
	s_mul_i32 s46, s2, s3
	s_mul_hi_u32 s48, s2, s47
	s_mul_hi_u32 s45, s2, s3
	s_add_u32 s46, s48, s46
	s_addc_u32 s45, 0, s45
	s_mul_hi_u32 s49, s44, s47
	s_mul_i32 s47, s44, s47
	s_add_u32 s46, s46, s47
	s_mul_hi_u32 s48, s44, s3
	s_addc_u32 s45, s45, s49
	s_addc_u32 s46, s48, 0
	s_mul_i32 s3, s44, s3
	s_add_u32 s3, s45, s3
	s_addc_u32 s45, 0, s46
	s_add_u32 s46, s2, s3
	s_cselect_b64 s[2:3], -1, 0
	s_cmp_lg_u64 s[2:3], 0
	s_addc_u32 s44, s44, s45
	s_mul_i32 s2, s20, s44
	s_mul_hi_u32 s3, s20, s46
	s_add_i32 s2, s3, s2
	s_mul_i32 s41, s41, s46
	s_add_i32 s2, s2, s41
	s_mul_i32 s20, s20, s46
	s_mul_hi_u32 s41, s44, s20
	s_mul_i32 s45, s44, s20
	s_mul_i32 s48, s46, s2
	s_mul_hi_u32 s20, s46, s20
	s_mul_hi_u32 s47, s46, s2
	s_add_u32 s20, s20, s48
	s_addc_u32 s47, 0, s47
	s_add_u32 s20, s20, s45
	s_mul_hi_u32 s3, s44, s2
	s_addc_u32 s20, s47, s41
	s_addc_u32 s3, s3, 0
	s_mul_i32 s2, s44, s2
	s_add_u32 s2, s20, s2
	s_addc_u32 s20, 0, s3
	s_add_u32 s41, s46, s2
	s_cselect_b64 s[2:3], -1, 0
	s_cmp_lg_u64 s[2:3], 0
	s_addc_u32 s20, s44, s20
	v_xor_b32_e32 v3, v8, v6
	v_xor_b32_e32 v1, v9, v6
	v_mad_u64_u32 v[8:9], s[2:3], v3, s20, 0
	v_mul_hi_u32 v12, v3, s41
	v_lshl_add_u64 v[8:9], v[12:13], 0, v[8:9]
	v_mad_u64_u32 v[16:17], s[2:3], v1, s41, 0
	v_add_co_u32_e32 v7, vcc, v8, v16
	v_mad_u64_u32 v[12:13], s[2:3], v1, s20, 0
	s_nop 0
	v_addc_co_u32_e32 v8, vcc, v9, v17, vcc
	v_mov_b32_e32 v9, v10
	s_nop 0
	v_addc_co_u32_e32 v13, vcc, 0, v13, vcc
	v_lshl_add_u64 v[8:9], v[8:9], 0, v[12:13]
	v_mul_lo_u32 v7, s43, v8
	v_mul_lo_u32 v12, s42, v9
	v_mad_u64_u32 v[10:11], s[2:3], s42, v8, 0
	v_add3_u32 v7, v11, v12, v7
	v_sub_u32_e32 v11, v1, v7
	v_mov_b32_e32 v12, s43
	v_sub_co_u32_e32 v3, vcc, v3, v10
	s_nop 1
	v_subb_co_u32_e64 v10, s[2:3], v11, v12, vcc
	v_subrev_co_u32_e64 v11, s[2:3], s42, v3
	v_subb_co_u32_e32 v1, vcc, v1, v7, vcc
	s_nop 0
	v_subbrev_co_u32_e64 v10, s[2:3], 0, v10, s[2:3]
	v_cmp_le_u32_e64 s[2:3], s43, v10
	v_cmp_le_u32_e32 vcc, s43, v1
	s_nop 0
	v_cndmask_b32_e64 v12, 0, -1, s[2:3]
	v_cmp_le_u32_e64 s[2:3], s42, v11
	v_cndmask_b32_e64 v7, 0, -1, vcc
	v_cmp_le_u32_e32 vcc, s42, v3
	v_cndmask_b32_e64 v11, 0, -1, s[2:3]
	v_cmp_eq_u32_e64 s[2:3], s43, v10
	v_cndmask_b32_e64 v3, 0, -1, vcc
	v_cmp_eq_u32_e32 vcc, s43, v1
	v_cndmask_b32_e64 v15, v12, v11, s[2:3]
	v_lshl_add_u64 v[10:11], v[8:9], 0, 2
	v_lshl_add_u64 v[12:13], v[8:9], 0, 1
	v_cmp_ne_u32_e64 s[2:3], 0, v15
	v_cndmask_b32_e32 v1, v7, v3, vcc
	v_cmp_ne_u32_e32 vcc, 0, v1
	v_cndmask_b32_e64 v3, v12, v10, s[2:3]
	v_cndmask_b32_e64 v11, v13, v11, s[2:3]
	v_cndmask_b32_e32 v3, v8, v3, vcc
	v_xor_b32_e32 v7, s40, v6
	v_cndmask_b32_e32 v1, v9, v11, vcc
	v_xor_b32_e32 v3, v3, v7
	v_xor_b32_e32 v1, v1, v7
	v_sub_co_u32_e32 v6, vcc, v3, v7
                                        ; implicit-def: $vgpr8
	s_nop 1
	v_subb_co_u32_e32 v7, vcc, v1, v7, vcc
.LBB0_74:
	s_andn2_saveexec_b64 s[2:3], s[38:39]
	s_cbranch_execz .LBB0_76
; %bb.75:
	v_cvt_f32_u32_e32 v1, s12
	s_sub_i32 s20, 0, s12
	v_rcp_iflag_f32_e32 v1, v1
	s_nop 0
	v_mul_f32_e32 v1, 0x4f7ffffe, v1
	v_cvt_u32_f32_e32 v1, v1
	v_mul_lo_u32 v3, s20, v1
	v_mul_hi_u32 v3, v1, v3
	v_add_u32_e32 v1, v1, v3
	v_mul_hi_u32 v1, v8, v1
	v_mul_lo_u32 v3, v1, s12
	v_sub_u32_e32 v3, v8, v3
	v_add_u32_e32 v6, 1, v1
	v_subrev_u32_e32 v7, s12, v3
	v_cmp_le_u32_e32 vcc, s12, v3
	s_nop 1
	v_cndmask_b32_e32 v3, v3, v7, vcc
	v_cndmask_b32_e32 v1, v1, v6, vcc
	v_add_u32_e32 v6, 1, v1
	v_cmp_le_u32_e32 vcc, s12, v3
	v_mov_b32_e32 v7, 0
	s_nop 0
	v_cndmask_b32_e32 v6, v1, v6, vcc
.LBB0_76:
	s_or_b64 exec, exec, s[2:3]
.LBB0_77:
	s_or_b64 exec, exec, s[36:37]
	v_or_b32_e32 v9, s13, v5
	v_mov_b32_e32 v8, 0
	v_cmp_ne_u64_e32 vcc, 0, v[8:9]
                                        ; implicit-def: $vgpr10_vgpr11
	s_and_saveexec_b64 s[2:3], vcc
	s_xor_b64 s[36:37], exec, s[2:3]
	s_cbranch_execz .LBB0_79
; %bb.78:
	s_ashr_i32 s38, s13, 31
	s_add_u32 s2, s12, s38
	s_mov_b32 s39, s38
	s_addc_u32 s3, s13, s38
	s_xor_b64 s[40:41], s[2:3], s[38:39]
	v_cvt_f32_u32_e32 v1, s40
	v_cvt_f32_u32_e32 v3, s41
	s_sub_u32 s20, 0, s40
	s_subb_u32 s39, 0, s41
	v_ashrrev_i32_e32 v10, 31, v5
	v_fmamk_f32 v1, v3, 0x4f800000, v1
	v_rcp_f32_e32 v1, v1
	v_mov_b32_e32 v11, v10
	v_lshl_add_u64 v[12:13], v[4:5], 0, v[10:11]
	v_mov_b32_e32 v17, v8
	v_mul_f32_e32 v1, 0x5f7ffffc, v1
	v_mul_f32_e32 v3, 0x2f800000, v1
	v_trunc_f32_e32 v3, v3
	v_fmamk_f32 v1, v3, 0xcf800000, v1
	v_cvt_u32_f32_e32 v3, v3
	v_cvt_u32_f32_e32 v1, v1
	v_readfirstlane_b32 s42, v3
	v_readfirstlane_b32 s2, v1
	s_mul_i32 s3, s20, s42
	s_mul_hi_u32 s44, s20, s2
	s_mul_i32 s43, s39, s2
	s_add_i32 s3, s44, s3
	s_add_i32 s3, s3, s43
	s_mul_i32 s45, s20, s2
	s_mul_i32 s44, s2, s3
	s_mul_hi_u32 s46, s2, s45
	s_mul_hi_u32 s43, s2, s3
	s_add_u32 s44, s46, s44
	s_addc_u32 s43, 0, s43
	s_mul_hi_u32 s47, s42, s45
	s_mul_i32 s45, s42, s45
	s_add_u32 s44, s44, s45
	s_mul_hi_u32 s46, s42, s3
	s_addc_u32 s43, s43, s47
	s_addc_u32 s44, s46, 0
	s_mul_i32 s3, s42, s3
	s_add_u32 s3, s43, s3
	s_addc_u32 s43, 0, s44
	s_add_u32 s44, s2, s3
	s_cselect_b64 s[2:3], -1, 0
	s_cmp_lg_u64 s[2:3], 0
	s_addc_u32 s42, s42, s43
	s_mul_i32 s2, s20, s42
	s_mul_hi_u32 s3, s20, s44
	s_add_i32 s2, s3, s2
	s_mul_i32 s39, s39, s44
	s_add_i32 s2, s2, s39
	s_mul_i32 s20, s20, s44
	s_mul_hi_u32 s39, s42, s20
	s_mul_i32 s43, s42, s20
	s_mul_i32 s46, s44, s2
	s_mul_hi_u32 s20, s44, s20
	s_mul_hi_u32 s45, s44, s2
	s_add_u32 s20, s20, s46
	s_addc_u32 s45, 0, s45
	s_add_u32 s20, s20, s43
	s_mul_hi_u32 s3, s42, s2
	s_addc_u32 s20, s45, s39
	s_addc_u32 s3, s3, 0
	s_mul_i32 s2, s42, s2
	s_add_u32 s2, s20, s2
	s_addc_u32 s20, 0, s3
	s_add_u32 s39, s44, s2
	s_cselect_b64 s[2:3], -1, 0
	s_cmp_lg_u64 s[2:3], 0
	s_addc_u32 s20, s42, s20
	v_xor_b32_e32 v3, v12, v10
	v_xor_b32_e32 v1, v13, v10
	v_mad_u64_u32 v[12:13], s[2:3], v3, s20, 0
	v_mul_hi_u32 v16, v3, s39
	v_lshl_add_u64 v[12:13], v[16:17], 0, v[12:13]
	v_mad_u64_u32 v[18:19], s[2:3], v1, s39, 0
	v_add_co_u32_e32 v9, vcc, v12, v18
	v_mad_u64_u32 v[16:17], s[2:3], v1, s20, 0
	s_nop 0
	v_addc_co_u32_e32 v12, vcc, v13, v19, vcc
	v_mov_b32_e32 v13, v8
	s_nop 0
	v_addc_co_u32_e32 v17, vcc, 0, v17, vcc
	v_lshl_add_u64 v[8:9], v[12:13], 0, v[16:17]
	v_mul_lo_u32 v11, s41, v8
	v_mul_lo_u32 v15, s40, v9
	v_mad_u64_u32 v[12:13], s[2:3], s40, v8, 0
	v_add3_u32 v11, v13, v15, v11
	v_sub_u32_e32 v13, v1, v11
	v_mov_b32_e32 v15, s41
	v_sub_co_u32_e32 v3, vcc, v3, v12
	v_lshl_add_u64 v[16:17], v[8:9], 0, 1
	s_nop 0
	v_subb_co_u32_e64 v12, s[2:3], v13, v15, vcc
	v_subrev_co_u32_e64 v13, s[2:3], s40, v3
	v_subb_co_u32_e32 v1, vcc, v1, v11, vcc
	s_nop 0
	v_subbrev_co_u32_e64 v12, s[2:3], 0, v12, s[2:3]
	v_cmp_le_u32_e64 s[2:3], s41, v12
	v_cmp_le_u32_e32 vcc, s41, v1
	s_nop 0
	v_cndmask_b32_e64 v15, 0, -1, s[2:3]
	v_cmp_le_u32_e64 s[2:3], s40, v13
	v_cndmask_b32_e64 v11, 0, -1, vcc
	v_cmp_le_u32_e32 vcc, s40, v3
	v_cndmask_b32_e64 v13, 0, -1, s[2:3]
	v_cmp_eq_u32_e64 s[2:3], s41, v12
	v_cndmask_b32_e64 v3, 0, -1, vcc
	v_cmp_eq_u32_e32 vcc, s41, v1
	v_cndmask_b32_e64 v15, v15, v13, s[2:3]
	v_lshl_add_u64 v[12:13], v[8:9], 0, 2
	v_cmp_ne_u32_e64 s[2:3], 0, v15
	v_cndmask_b32_e32 v1, v11, v3, vcc
	v_cmp_ne_u32_e32 vcc, 0, v1
	v_cndmask_b32_e64 v3, v16, v12, s[2:3]
	v_cndmask_b32_e64 v13, v17, v13, s[2:3]
	v_cndmask_b32_e32 v3, v8, v3, vcc
	v_xor_b32_e32 v8, s38, v10
	v_cndmask_b32_e32 v1, v9, v13, vcc
	v_xor_b32_e32 v3, v3, v8
	v_xor_b32_e32 v1, v1, v8
	v_sub_co_u32_e32 v10, vcc, v3, v8
	s_nop 1
	v_subb_co_u32_e32 v11, vcc, v1, v8, vcc
.LBB0_79:
	s_andn2_saveexec_b64 s[2:3], s[36:37]
	s_cbranch_execz .LBB0_81
; %bb.80:
	v_cvt_f32_u32_e32 v1, s12
	s_sub_i32 s20, 0, s12
	v_mov_b32_e32 v11, 0
	v_rcp_iflag_f32_e32 v1, v1
	s_nop 0
	v_mul_f32_e32 v1, 0x4f7ffffe, v1
	v_cvt_u32_f32_e32 v1, v1
	v_mul_lo_u32 v3, s20, v1
	v_mul_hi_u32 v3, v1, v3
	v_add_u32_e32 v1, v1, v3
	v_mul_hi_u32 v1, v4, v1
	v_mul_lo_u32 v3, v1, s12
	v_sub_u32_e32 v3, v4, v3
	v_add_u32_e32 v8, 1, v1
	v_subrev_u32_e32 v9, s12, v3
	v_cmp_le_u32_e32 vcc, s12, v3
	s_nop 1
	v_cndmask_b32_e32 v3, v3, v9, vcc
	v_cndmask_b32_e32 v1, v1, v8, vcc
	v_add_u32_e32 v8, 1, v1
	v_cmp_le_u32_e32 vcc, s12, v3
	s_nop 1
	v_cndmask_b32_e32 v10, v1, v8, vcc
.LBB0_81:
	s_or_b64 exec, exec, s[2:3]
	v_mul_lo_u32 v1, v7, s12
	v_mul_lo_u32 v3, v6, s13
	v_mad_u64_u32 v[8:9], s[2:3], v6, s12, 0
	v_add3_u32 v9, v9, v3, v1
	v_cmp_gt_i64_e32 vcc, v[8:9], v[4:5]
	v_mov_b64_e32 v[8:9], s[10:11]
	v_mad_u64_u32 v[8:9], s[2:3], v6, s12, v[8:9]
	v_add3_u32 v9, v1, v9, v3
	v_cmp_ge_i64_e64 s[2:3], v[4:5], v[8:9]
	s_or_b64 s[2:3], vcc, s[2:3]
	v_mov_b32_e32 v1, s15
	v_cndmask_b32_e64 v8, 0, 1, s[2:3]
	s_mov_b32 s2, 0
	v_mov_b32_e32 v9, s2
	v_cmp_gt_i64_e32 vcc, s[14:15], v[10:11]
	v_lshl_add_u64 v[12:13], v[6:7], 0, v[8:9]
	s_nop 0
	v_cndmask_b32_e32 v7, v1, v11, vcc
	v_mov_b32_e32 v1, s14
	v_cndmask_b32_e32 v6, v1, v10, vcc
	v_cmp_le_i64_e32 vcc, v[12:13], v[6:7]
	s_and_saveexec_b64 s[2:3], vcc
	s_cbranch_execz .LBB0_84
; %bb.82:
	global_load_ubyte v10, v2, s[4:5]
	v_mul_lo_u32 v11, s13, v12
	v_mul_lo_u32 v15, s12, v13
	v_mad_u64_u32 v[16:17], s[36:37], s12, v12, 0
	v_mov_b32_e32 v3, 0
	v_add3_u32 v11, v17, v15, v11
	v_sub_co_u32_e32 v15, vcc, v4, v16
	v_lshl_add_u64 v[8:9], s[4:5], 0, v[2:3]
	v_mov_b32_e32 v1, v3
	v_lshl_add_u64 v[2:3], v[12:13], 0, -1
	v_subb_co_u32_e32 v11, vcc, v5, v11, vcc
	v_mul_lo_u32 v16, s17, v12
	v_mul_lo_u32 v13, s16, v13
	v_mad_u64_u32 v[4:5], s[36:37], s16, v12, 0
	v_add3_u32 v5, v5, v13, v16
	v_mad_u64_u32 v[4:5], s[36:37], s18, v15, v[4:5]
	s_mul_i32 s20, s12, s19
	s_mul_hi_u32 s36, s12, s18
	v_mul_lo_u32 v11, s18, v11
	v_mul_lo_u32 v12, s19, v15
	s_add_i32 s20, s36, s20
	s_mul_i32 s36, s13, s18
	v_add3_u32 v5, v12, v5, v11
	s_add_i32 s20, s20, s36
	s_mul_i32 s36, s12, s18
	v_lshl_add_u64 v[0:1], v[4:5], 0, v[0:1]
	s_sub_u32 s36, s16, s36
	v_lshl_add_u64 v[0:1], s[6:7], 0, v[0:1]
	s_subb_u32 s37, s17, s20
	s_mov_b64 s[38:39], 0
.LBB0_83:                               ; =>This Inner Loop Header: Depth=1
	global_load_ubyte v4, v[0:1], off
	v_lshl_add_u64 v[2:3], v[2:3], 0, 1
	v_cmp_ge_i64_e32 vcc, v[2:3], v[6:7]
	v_lshl_add_u64 v[0:1], v[0:1], 0, s[36:37]
	s_or_b64 s[38:39], vcc, s[38:39]
	s_waitcnt vmcnt(0)
	v_add_u16_e32 v10, v4, v10
	global_store_byte v[8:9], v10, off
	s_andn2_b64 exec, exec, s[38:39]
	s_cbranch_execnz .LBB0_83
.LBB0_84:
	s_or_b64 exec, exec, s[2:3]
	v_add_u32_e32 v14, 0x100, v14
	s_or_b64 exec, exec, s[66:67]
	v_cmp_gt_i32_e32 vcc, s70, v14
	s_and_saveexec_b64 s[2:3], vcc
	s_cbranch_execz .LBB0_111
.LBB0_85:
	s_and_b64 vcc, exec, s[0:1]
	s_cbranch_vccnz .LBB0_91
; %bb.86:
	v_mov_b32_e32 v4, 0
	s_andn2_b64 vcc, exec, s[64:65]
	v_mov_b32_e32 v0, 0
	v_mov_b32_e32 v2, 0
	s_cbranch_vccnz .LBB0_95
; %bb.87:
	s_add_i32 s69, s69, 1
	s_cmp_eq_u32 s68, 2
	s_cbranch_scc1 .LBB0_92
; %bb.88:
	s_and_b32 s20, s69, 28
	v_mov_b32_e32 v2, 0
	s_mov_b32 s56, 0
	v_mov_b32_e32 v6, v14
	v_mov_b32_e32 v0, 0
	;; [unrolled: 1-line block ×3, first 2 shown]
.LBB0_89:                               ; =>This Inner Loop Header: Depth=1
	s_load_dwordx8 s[36:43], s[62:63], 0x0
	s_load_dwordx4 s[0:3], s[62:63], 0x20
	s_load_dwordx4 s[52:55], s[62:63], 0xe0
	s_load_dwordx8 s[44:51], s[62:63], 0xc0
	s_add_i32 s56, s56, 4
	s_waitcnt lgkmcnt(0)
	v_mul_hi_u32 v1, s37, v6
	v_add_u32_e32 v1, v6, v1
	v_lshrrev_b32_e32 v1, s38, v1
	v_mul_hi_u32 v5, s40, v1
	v_add_u32_e32 v5, v1, v5
	v_lshrrev_b32_e32 v5, s41, v5
	v_mul_lo_u32 v3, v1, s36
	v_mul_lo_u32 v8, v5, s39
	v_mul_hi_u32 v9, s43, v5
	v_sub_u32_e32 v3, v6, v3
	v_sub_u32_e32 v1, v1, v8
	v_add_u32_e32 v8, v5, v9
	v_mul_lo_u32 v6, v3, s44
	v_mul_lo_u32 v7, v3, s46
	;; [unrolled: 1-line block ×6, first 2 shown]
	v_lshrrev_b32_e32 v8, s0, v8
	v_add3_u32 v0, v3, v0, v1
	v_add3_u32 v1, v7, v4, v10
	v_mul_hi_u32 v4, s2, v8
	v_add_u32_e32 v4, v8, v4
	v_add3_u32 v2, v6, v2, v9
	v_lshrrev_b32_e32 v6, s3, v4
	v_mul_lo_u32 v3, v8, s42
	v_mul_lo_u32 v4, v6, s1
	s_add_u32 s62, s62, 48
	v_sub_u32_e32 v3, v5, v3
	v_sub_u32_e32 v4, v8, v4
	s_addc_u32 s63, s63, 0
	v_mul_lo_u32 v5, v3, s50
	v_mul_lo_u32 v7, v3, s51
	;; [unrolled: 1-line block ×6, first 2 shown]
	s_cmp_eq_u32 s20, s56
	v_add3_u32 v2, v5, v2, v8
	v_add3_u32 v4, v3, v1, v4
	;; [unrolled: 1-line block ×3, first 2 shown]
	s_cbranch_scc0 .LBB0_89
; %bb.90:
	v_mov_b32_e32 v1, v4
	s_and_b32 s2, s69, 3
	s_cmp_eq_u32 s2, 0
	s_cbranch_scc0 .LBB0_93
	s_branch .LBB0_95
.LBB0_91:
                                        ; implicit-def: $vgpr4
                                        ; implicit-def: $vgpr0
                                        ; implicit-def: $vgpr2
	s_branch .LBB0_96
.LBB0_92:
	v_mov_b32_e32 v0, 0
	s_mov_b32 s20, 0
	v_mov_b32_e32 v1, v0
                                        ; implicit-def: $vgpr4
	v_mov_b32_e32 v6, v14
	v_mov_b32_e32 v2, v0
	s_and_b32 s2, s69, 3
	s_cmp_eq_u32 s2, 0
	s_cbranch_scc1 .LBB0_95
.LBB0_93:
	s_mul_i32 s0, s20, 12
	s_add_u32 s0, s27, s0
	s_addc_u32 s1, s33, 0
	s_add_u32 s0, s0, 4
	s_addc_u32 s1, s1, 0
.LBB0_94:                               ; =>This Inner Loop Header: Depth=1
	s_load_dwordx2 s[36:37], s[0:1], 0x0
	s_load_dword s3, s[0:1], 0x8
	s_load_dwordx2 s[38:39], s[0:1], 0xc0
	s_load_dword s20, s[0:1], 0xc8
	v_mov_b32_e32 v4, v1
	s_waitcnt lgkmcnt(0)
	v_mul_hi_u32 v1, s37, v6
	v_add_u32_e32 v1, v6, v1
	v_lshrrev_b32_e32 v1, s3, v1
	v_mul_lo_u32 v3, v1, s36
	s_add_u32 s0, s0, 12
	v_sub_u32_e32 v7, v6, v3
	s_addc_u32 s1, s1, 0
	s_add_i32 s2, s2, -1
	v_mov_b32_e32 v6, v1
	v_mad_u64_u32 v[4:5], s[36:37], v7, s20, v[4:5]
	v_mad_u64_u32 v[0:1], s[36:37], v7, s39, v[0:1]
	s_cmp_lg_u32 s2, 0
	v_mad_u64_u32 v[2:3], s[36:37], v7, s38, v[2:3]
	v_mov_b32_e32 v1, v4
	s_cbranch_scc1 .LBB0_94
.LBB0_95:
	s_cbranch_execnz .LBB0_98
.LBB0_96:
	v_mul_hi_u32 v0, s22, v14
	v_add_u32_e32 v0, v14, v0
	v_lshrrev_b32_e32 v1, s23, v0
	v_mul_lo_u32 v0, v1, s21
	v_sub_u32_e32 v0, v14, v0
	v_mul_lo_u32 v2, v0, s28
	v_mul_lo_u32 v4, v0, s30
	s_andn2_b64 vcc, exec, s[60:61]
	v_mul_lo_u32 v0, v0, s29
	s_cbranch_vccnz .LBB0_98
; %bb.97:
	v_mul_hi_u32 v3, s25, v1
	v_add_u32_e32 v3, v1, v3
	v_lshrrev_b32_e32 v3, s26, v3
	v_mul_lo_u32 v3, v3, s24
	v_sub_u32_e32 v5, v1, v3
	v_mad_u64_u32 v[2:3], s[0:1], v5, s31, v[2:3]
	v_mad_u64_u32 v[0:1], s[0:1], v5, s34, v[0:1]
	v_mad_u64_u32 v[4:5], s[0:1], v5, s35, v[4:5]
.LBB0_98:
	global_load_dwordx2 v[4:5], v4, s[8:9]
	v_mov_b64_e32 v[6:7], 0
	s_waitcnt vmcnt(0)
	v_cmp_lt_i64_e32 vcc, s[10:11], v[4:5]
	s_and_saveexec_b64 s[2:3], vcc
	s_cbranch_execz .LBB0_104
; %bb.99:
	v_mov_b32_e32 v1, s11
	v_subrev_co_u32_e32 v8, vcc, s10, v4
	v_mov_b32_e32 v10, 0
	s_nop 0
	v_subb_co_u32_e32 v9, vcc, v5, v1, vcc
	v_or_b32_e32 v11, s13, v9
	v_cmp_ne_u64_e32 vcc, 0, v[10:11]
                                        ; implicit-def: $vgpr6_vgpr7
	s_and_saveexec_b64 s[0:1], vcc
	s_xor_b64 s[8:9], exec, s[0:1]
	s_cbranch_execz .LBB0_101
; %bb.100:
	s_ashr_i32 s20, s13, 31
	s_add_u32 s0, s12, s20
	s_mov_b32 s21, s20
	s_addc_u32 s1, s13, s20
	s_xor_b64 s[22:23], s[0:1], s[20:21]
	v_cvt_f32_u32_e32 v1, s22
	v_cvt_f32_u32_e32 v3, s23
	s_sub_u32 s21, 0, s22
	s_subb_u32 s24, 0, s23
	v_ashrrev_i32_e32 v6, 31, v9
	v_fmamk_f32 v1, v3, 0x4f800000, v1
	v_rcp_f32_e32 v1, v1
	v_mov_b32_e32 v7, v6
	v_lshl_add_u64 v[8:9], v[8:9], 0, v[6:7]
	v_mov_b32_e32 v13, v10
	v_mul_f32_e32 v1, 0x5f7ffffc, v1
	v_mul_f32_e32 v3, 0x2f800000, v1
	v_trunc_f32_e32 v3, v3
	v_fmamk_f32 v1, v3, 0xcf800000, v1
	v_cvt_u32_f32_e32 v3, v3
	v_cvt_u32_f32_e32 v1, v1
	v_readfirstlane_b32 s25, v3
	v_readfirstlane_b32 s0, v1
	s_mul_i32 s1, s21, s25
	s_mul_hi_u32 s27, s21, s0
	s_mul_i32 s26, s24, s0
	s_add_i32 s1, s27, s1
	s_add_i32 s1, s1, s26
	s_mul_i32 s28, s21, s0
	s_mul_i32 s27, s0, s1
	s_mul_hi_u32 s29, s0, s28
	s_mul_hi_u32 s26, s0, s1
	s_add_u32 s27, s29, s27
	s_addc_u32 s26, 0, s26
	s_mul_hi_u32 s30, s25, s28
	s_mul_i32 s28, s25, s28
	s_add_u32 s27, s27, s28
	s_mul_hi_u32 s29, s25, s1
	s_addc_u32 s26, s26, s30
	s_addc_u32 s27, s29, 0
	s_mul_i32 s1, s25, s1
	s_add_u32 s1, s26, s1
	s_addc_u32 s26, 0, s27
	s_add_u32 s27, s0, s1
	s_cselect_b64 s[0:1], -1, 0
	s_cmp_lg_u64 s[0:1], 0
	s_addc_u32 s25, s25, s26
	s_mul_i32 s0, s21, s25
	s_mul_hi_u32 s1, s21, s27
	s_add_i32 s0, s1, s0
	s_mul_i32 s24, s24, s27
	s_add_i32 s0, s0, s24
	s_mul_i32 s21, s21, s27
	s_mul_hi_u32 s24, s25, s21
	s_mul_i32 s26, s25, s21
	s_mul_i32 s29, s27, s0
	s_mul_hi_u32 s21, s27, s21
	s_mul_hi_u32 s28, s27, s0
	s_add_u32 s21, s21, s29
	s_addc_u32 s28, 0, s28
	s_add_u32 s21, s21, s26
	s_mul_hi_u32 s1, s25, s0
	s_addc_u32 s21, s28, s24
	s_addc_u32 s1, s1, 0
	s_mul_i32 s0, s25, s0
	s_add_u32 s0, s21, s0
	s_addc_u32 s21, 0, s1
	s_add_u32 s24, s27, s0
	s_cselect_b64 s[0:1], -1, 0
	s_cmp_lg_u64 s[0:1], 0
	s_addc_u32 s21, s25, s21
	v_xor_b32_e32 v3, v8, v6
	v_xor_b32_e32 v1, v9, v6
	v_mad_u64_u32 v[8:9], s[0:1], v3, s21, 0
	v_mul_hi_u32 v12, v3, s24
	v_lshl_add_u64 v[8:9], v[12:13], 0, v[8:9]
	v_mad_u64_u32 v[14:15], s[0:1], v1, s24, 0
	v_add_co_u32_e32 v7, vcc, v8, v14
	v_mad_u64_u32 v[12:13], s[0:1], v1, s21, 0
	s_nop 0
	v_addc_co_u32_e32 v8, vcc, v9, v15, vcc
	v_mov_b32_e32 v9, v10
	s_nop 0
	v_addc_co_u32_e32 v13, vcc, 0, v13, vcc
	v_lshl_add_u64 v[8:9], v[8:9], 0, v[12:13]
	v_mul_lo_u32 v7, s23, v8
	v_mul_lo_u32 v12, s22, v9
	v_mad_u64_u32 v[10:11], s[0:1], s22, v8, 0
	v_add3_u32 v7, v11, v12, v7
	v_sub_u32_e32 v11, v1, v7
	v_mov_b32_e32 v12, s23
	v_sub_co_u32_e32 v3, vcc, v3, v10
	s_nop 1
	v_subb_co_u32_e64 v10, s[0:1], v11, v12, vcc
	v_subrev_co_u32_e64 v11, s[0:1], s22, v3
	v_subb_co_u32_e32 v1, vcc, v1, v7, vcc
	s_nop 0
	v_subbrev_co_u32_e64 v10, s[0:1], 0, v10, s[0:1]
	v_cmp_le_u32_e64 s[0:1], s23, v10
	v_cmp_le_u32_e32 vcc, s23, v1
	s_nop 0
	v_cndmask_b32_e64 v12, 0, -1, s[0:1]
	v_cmp_le_u32_e64 s[0:1], s22, v11
	v_cndmask_b32_e64 v7, 0, -1, vcc
	v_cmp_le_u32_e32 vcc, s22, v3
	v_cndmask_b32_e64 v11, 0, -1, s[0:1]
	v_cmp_eq_u32_e64 s[0:1], s23, v10
	v_cndmask_b32_e64 v3, 0, -1, vcc
	v_cmp_eq_u32_e32 vcc, s23, v1
	v_cndmask_b32_e64 v14, v12, v11, s[0:1]
	v_lshl_add_u64 v[10:11], v[8:9], 0, 2
	v_lshl_add_u64 v[12:13], v[8:9], 0, 1
	v_cmp_ne_u32_e64 s[0:1], 0, v14
	v_cndmask_b32_e32 v1, v7, v3, vcc
	v_cmp_ne_u32_e32 vcc, 0, v1
	v_cndmask_b32_e64 v3, v12, v10, s[0:1]
	v_cndmask_b32_e64 v11, v13, v11, s[0:1]
	v_cndmask_b32_e32 v3, v8, v3, vcc
	v_xor_b32_e32 v7, s20, v6
	v_cndmask_b32_e32 v1, v9, v11, vcc
	v_xor_b32_e32 v3, v3, v7
	v_xor_b32_e32 v1, v1, v7
	v_sub_co_u32_e32 v6, vcc, v3, v7
                                        ; implicit-def: $vgpr8
	s_nop 1
	v_subb_co_u32_e32 v7, vcc, v1, v7, vcc
.LBB0_101:
	s_andn2_saveexec_b64 s[0:1], s[8:9]
	s_cbranch_execz .LBB0_103
; %bb.102:
	v_cvt_f32_u32_e32 v1, s12
	s_sub_i32 s8, 0, s12
	v_rcp_iflag_f32_e32 v1, v1
	s_nop 0
	v_mul_f32_e32 v1, 0x4f7ffffe, v1
	v_cvt_u32_f32_e32 v1, v1
	v_mul_lo_u32 v3, s8, v1
	v_mul_hi_u32 v3, v1, v3
	v_add_u32_e32 v1, v1, v3
	v_mul_hi_u32 v1, v8, v1
	v_mul_lo_u32 v3, v1, s12
	v_sub_u32_e32 v3, v8, v3
	v_add_u32_e32 v6, 1, v1
	v_subrev_u32_e32 v7, s12, v3
	v_cmp_le_u32_e32 vcc, s12, v3
	s_nop 1
	v_cndmask_b32_e32 v3, v3, v7, vcc
	v_cndmask_b32_e32 v1, v1, v6, vcc
	v_add_u32_e32 v6, 1, v1
	v_cmp_le_u32_e32 vcc, s12, v3
	v_mov_b32_e32 v7, 0
	s_nop 0
	v_cndmask_b32_e32 v6, v1, v6, vcc
.LBB0_103:
	s_or_b64 exec, exec, s[0:1]
.LBB0_104:
	s_or_b64 exec, exec, s[2:3]
	v_or_b32_e32 v9, s13, v5
	v_mov_b32_e32 v8, 0
	v_cmp_ne_u64_e32 vcc, 0, v[8:9]
                                        ; implicit-def: $vgpr10_vgpr11
	s_and_saveexec_b64 s[0:1], vcc
	s_xor_b64 s[2:3], exec, s[0:1]
	s_cbranch_execz .LBB0_106
; %bb.105:
	s_ashr_i32 s8, s13, 31
	s_add_u32 s0, s12, s8
	s_mov_b32 s9, s8
	s_addc_u32 s1, s13, s8
	s_xor_b64 s[20:21], s[0:1], s[8:9]
	v_cvt_f32_u32_e32 v1, s20
	v_cvt_f32_u32_e32 v3, s21
	s_sub_u32 s9, 0, s20
	s_subb_u32 s22, 0, s21
	v_ashrrev_i32_e32 v10, 31, v5
	v_fmamk_f32 v1, v3, 0x4f800000, v1
	v_rcp_f32_e32 v1, v1
	v_mov_b32_e32 v11, v10
	v_lshl_add_u64 v[12:13], v[4:5], 0, v[10:11]
	v_mov_b32_e32 v15, v8
	v_mul_f32_e32 v1, 0x5f7ffffc, v1
	v_mul_f32_e32 v3, 0x2f800000, v1
	v_trunc_f32_e32 v3, v3
	v_fmamk_f32 v1, v3, 0xcf800000, v1
	v_cvt_u32_f32_e32 v3, v3
	v_cvt_u32_f32_e32 v1, v1
	v_readfirstlane_b32 s23, v3
	v_readfirstlane_b32 s0, v1
	s_mul_i32 s1, s9, s23
	s_mul_hi_u32 s25, s9, s0
	s_mul_i32 s24, s22, s0
	s_add_i32 s1, s25, s1
	s_add_i32 s1, s1, s24
	s_mul_i32 s26, s9, s0
	s_mul_i32 s25, s0, s1
	s_mul_hi_u32 s27, s0, s26
	s_mul_hi_u32 s24, s0, s1
	s_add_u32 s25, s27, s25
	s_addc_u32 s24, 0, s24
	s_mul_hi_u32 s28, s23, s26
	s_mul_i32 s26, s23, s26
	s_add_u32 s25, s25, s26
	s_mul_hi_u32 s27, s23, s1
	s_addc_u32 s24, s24, s28
	s_addc_u32 s25, s27, 0
	s_mul_i32 s1, s23, s1
	s_add_u32 s1, s24, s1
	s_addc_u32 s24, 0, s25
	s_add_u32 s25, s0, s1
	s_cselect_b64 s[0:1], -1, 0
	s_cmp_lg_u64 s[0:1], 0
	s_addc_u32 s23, s23, s24
	s_mul_i32 s0, s9, s23
	s_mul_hi_u32 s1, s9, s25
	s_add_i32 s0, s1, s0
	s_mul_i32 s22, s22, s25
	s_add_i32 s0, s0, s22
	s_mul_i32 s9, s9, s25
	s_mul_hi_u32 s22, s23, s9
	s_mul_i32 s24, s23, s9
	s_mul_i32 s27, s25, s0
	s_mul_hi_u32 s9, s25, s9
	s_mul_hi_u32 s26, s25, s0
	s_add_u32 s9, s9, s27
	s_addc_u32 s26, 0, s26
	s_add_u32 s9, s9, s24
	s_mul_hi_u32 s1, s23, s0
	s_addc_u32 s9, s26, s22
	s_addc_u32 s1, s1, 0
	s_mul_i32 s0, s23, s0
	s_add_u32 s0, s9, s0
	s_addc_u32 s9, 0, s1
	s_add_u32 s22, s25, s0
	s_cselect_b64 s[0:1], -1, 0
	s_cmp_lg_u64 s[0:1], 0
	s_addc_u32 s9, s23, s9
	v_xor_b32_e32 v3, v12, v10
	v_xor_b32_e32 v1, v13, v10
	v_mad_u64_u32 v[12:13], s[0:1], v3, s9, 0
	v_mul_hi_u32 v14, v3, s22
	v_lshl_add_u64 v[12:13], v[14:15], 0, v[12:13]
	v_mad_u64_u32 v[16:17], s[0:1], v1, s22, 0
	v_add_co_u32_e32 v9, vcc, v12, v16
	v_mad_u64_u32 v[14:15], s[0:1], v1, s9, 0
	s_nop 0
	v_addc_co_u32_e32 v12, vcc, v13, v17, vcc
	v_mov_b32_e32 v13, v8
	s_nop 0
	v_addc_co_u32_e32 v15, vcc, 0, v15, vcc
	v_lshl_add_u64 v[8:9], v[12:13], 0, v[14:15]
	v_mul_lo_u32 v11, s21, v8
	v_mul_lo_u32 v14, s20, v9
	v_mad_u64_u32 v[12:13], s[0:1], s20, v8, 0
	v_add3_u32 v11, v13, v14, v11
	v_sub_u32_e32 v13, v1, v11
	v_mov_b32_e32 v14, s21
	v_sub_co_u32_e32 v3, vcc, v3, v12
	s_nop 1
	v_subb_co_u32_e64 v12, s[0:1], v13, v14, vcc
	v_subrev_co_u32_e64 v13, s[0:1], s20, v3
	v_subb_co_u32_e32 v1, vcc, v1, v11, vcc
	s_nop 0
	v_subbrev_co_u32_e64 v12, s[0:1], 0, v12, s[0:1]
	v_cmp_le_u32_e64 s[0:1], s21, v12
	v_cmp_le_u32_e32 vcc, s21, v1
	s_nop 0
	v_cndmask_b32_e64 v14, 0, -1, s[0:1]
	v_cmp_le_u32_e64 s[0:1], s20, v13
	v_cndmask_b32_e64 v11, 0, -1, vcc
	v_cmp_le_u32_e32 vcc, s20, v3
	v_cndmask_b32_e64 v13, 0, -1, s[0:1]
	v_cmp_eq_u32_e64 s[0:1], s21, v12
	v_cndmask_b32_e64 v3, 0, -1, vcc
	v_cmp_eq_u32_e32 vcc, s21, v1
	v_cndmask_b32_e64 v16, v14, v13, s[0:1]
	v_lshl_add_u64 v[12:13], v[8:9], 0, 2
	v_lshl_add_u64 v[14:15], v[8:9], 0, 1
	v_cmp_ne_u32_e64 s[0:1], 0, v16
	v_cndmask_b32_e32 v1, v11, v3, vcc
	v_cmp_ne_u32_e32 vcc, 0, v1
	v_cndmask_b32_e64 v3, v14, v12, s[0:1]
	v_cndmask_b32_e64 v13, v15, v13, s[0:1]
	v_cndmask_b32_e32 v3, v8, v3, vcc
	v_xor_b32_e32 v8, s8, v10
	v_cndmask_b32_e32 v1, v9, v13, vcc
	v_xor_b32_e32 v3, v3, v8
	v_xor_b32_e32 v1, v1, v8
	v_sub_co_u32_e32 v10, vcc, v3, v8
	s_nop 1
	v_subb_co_u32_e32 v11, vcc, v1, v8, vcc
.LBB0_106:
	s_andn2_saveexec_b64 s[0:1], s[2:3]
	s_cbranch_execz .LBB0_108
; %bb.107:
	v_cvt_f32_u32_e32 v1, s12
	s_sub_i32 s2, 0, s12
	v_mov_b32_e32 v11, 0
	v_rcp_iflag_f32_e32 v1, v1
	s_nop 0
	v_mul_f32_e32 v1, 0x4f7ffffe, v1
	v_cvt_u32_f32_e32 v1, v1
	v_mul_lo_u32 v3, s2, v1
	v_mul_hi_u32 v3, v1, v3
	v_add_u32_e32 v1, v1, v3
	v_mul_hi_u32 v1, v4, v1
	v_mul_lo_u32 v3, v1, s12
	v_sub_u32_e32 v3, v4, v3
	v_add_u32_e32 v8, 1, v1
	v_subrev_u32_e32 v9, s12, v3
	v_cmp_le_u32_e32 vcc, s12, v3
	s_nop 1
	v_cndmask_b32_e32 v3, v3, v9, vcc
	v_cndmask_b32_e32 v1, v1, v8, vcc
	v_add_u32_e32 v8, 1, v1
	v_cmp_le_u32_e32 vcc, s12, v3
	s_nop 1
	v_cndmask_b32_e32 v10, v1, v8, vcc
.LBB0_108:
	s_or_b64 exec, exec, s[0:1]
	v_mul_lo_u32 v1, v7, s12
	v_mul_lo_u32 v3, v6, s13
	v_mad_u64_u32 v[8:9], s[0:1], v6, s12, 0
	v_add3_u32 v9, v9, v3, v1
	v_cmp_gt_i64_e32 vcc, v[8:9], v[4:5]
	v_mov_b64_e32 v[8:9], s[10:11]
	v_mad_u64_u32 v[8:9], s[0:1], v6, s12, v[8:9]
	v_add3_u32 v9, v1, v9, v3
	v_cmp_ge_i64_e64 s[0:1], v[4:5], v[8:9]
	s_or_b64 s[0:1], vcc, s[0:1]
	v_mov_b32_e32 v1, s15
	v_cndmask_b32_e64 v8, 0, 1, s[0:1]
	s_mov_b32 s0, 0
	v_mov_b32_e32 v9, s0
	v_cmp_gt_i64_e32 vcc, s[14:15], v[10:11]
	v_lshl_add_u64 v[12:13], v[6:7], 0, v[8:9]
	s_nop 0
	v_cndmask_b32_e32 v7, v1, v11, vcc
	v_mov_b32_e32 v1, s14
	v_cndmask_b32_e32 v6, v1, v10, vcc
	v_cmp_le_i64_e32 vcc, v[12:13], v[6:7]
	s_and_b64 exec, exec, vcc
	s_cbranch_execz .LBB0_111
; %bb.109:
	global_load_ubyte v10, v2, s[4:5]
	v_mul_lo_u32 v11, s13, v12
	v_mul_lo_u32 v16, s12, v13
	v_mad_u64_u32 v[14:15], s[0:1], s12, v12, 0
	v_mov_b32_e32 v3, 0
	v_add3_u32 v11, v15, v16, v11
	v_sub_co_u32_e32 v14, vcc, v4, v14
	v_lshl_add_u64 v[8:9], s[4:5], 0, v[2:3]
	v_mov_b32_e32 v1, v3
	v_lshl_add_u64 v[2:3], v[12:13], 0, -1
	v_subb_co_u32_e32 v11, vcc, v5, v11, vcc
	v_mul_lo_u32 v15, s17, v12
	v_mul_lo_u32 v13, s16, v13
	v_mad_u64_u32 v[4:5], s[0:1], s16, v12, 0
	v_add3_u32 v5, v5, v13, v15
	v_mad_u64_u32 v[4:5], s[0:1], s18, v14, v[4:5]
	s_mul_i32 s0, s12, s19
	s_mul_hi_u32 s1, s12, s18
	v_mul_lo_u32 v11, s18, v11
	v_mul_lo_u32 v12, s19, v14
	s_add_i32 s0, s1, s0
	s_mul_i32 s1, s13, s18
	v_add3_u32 v5, v12, v5, v11
	s_add_i32 s1, s0, s1
	s_mul_i32 s0, s12, s18
	v_lshl_add_u64 v[0:1], v[4:5], 0, v[0:1]
	s_sub_u32 s0, s16, s0
	v_lshl_add_u64 v[0:1], s[6:7], 0, v[0:1]
	s_subb_u32 s1, s17, s1
	s_mov_b64 s[2:3], 0
.LBB0_110:                              ; =>This Inner Loop Header: Depth=1
	global_load_ubyte v4, v[0:1], off
	v_lshl_add_u64 v[2:3], v[2:3], 0, 1
	v_cmp_ge_i64_e32 vcc, v[2:3], v[6:7]
	v_lshl_add_u64 v[0:1], v[0:1], 0, s[0:1]
	s_or_b64 s[2:3], vcc, s[2:3]
	s_waitcnt vmcnt(0)
	v_add_u16_e32 v10, v4, v10
	global_store_byte v[8:9], v10, off
	s_andn2_b64 exec, exec, s[2:3]
	s_cbranch_execnz .LBB0_110
.LBB0_111:
	s_endpgm
	.section	.rodata,"a",@progbits
	.p2align	6, 0x0
	.amdhsa_kernel _ZN2at6native12_GLOBAL__N_135_unfold_backward_elementwise_kernelILi256ELi4EZNS1_32_unfold_backward_internal_kernelIhEEvRNS_14TensorIteratorEllllllEUliE_EEviT1_
		.amdhsa_group_segment_fixed_size 0
		.amdhsa_private_segment_fixed_size 0
		.amdhsa_kernarg_size 464
		.amdhsa_user_sgpr_count 2
		.amdhsa_user_sgpr_dispatch_ptr 0
		.amdhsa_user_sgpr_queue_ptr 0
		.amdhsa_user_sgpr_kernarg_segment_ptr 1
		.amdhsa_user_sgpr_dispatch_id 0
		.amdhsa_user_sgpr_kernarg_preload_length 0
		.amdhsa_user_sgpr_kernarg_preload_offset 0
		.amdhsa_user_sgpr_private_segment_size 0
		.amdhsa_uses_dynamic_stack 0
		.amdhsa_enable_private_segment 0
		.amdhsa_system_sgpr_workgroup_id_x 1
		.amdhsa_system_sgpr_workgroup_id_y 0
		.amdhsa_system_sgpr_workgroup_id_z 0
		.amdhsa_system_sgpr_workgroup_info 0
		.amdhsa_system_vgpr_workitem_id 0
		.amdhsa_next_free_vgpr 20
		.amdhsa_next_free_sgpr 73
		.amdhsa_accum_offset 20
		.amdhsa_reserve_vcc 1
		.amdhsa_float_round_mode_32 0
		.amdhsa_float_round_mode_16_64 0
		.amdhsa_float_denorm_mode_32 3
		.amdhsa_float_denorm_mode_16_64 3
		.amdhsa_dx10_clamp 1
		.amdhsa_ieee_mode 1
		.amdhsa_fp16_overflow 0
		.amdhsa_tg_split 0
		.amdhsa_exception_fp_ieee_invalid_op 0
		.amdhsa_exception_fp_denorm_src 0
		.amdhsa_exception_fp_ieee_div_zero 0
		.amdhsa_exception_fp_ieee_overflow 0
		.amdhsa_exception_fp_ieee_underflow 0
		.amdhsa_exception_fp_ieee_inexact 0
		.amdhsa_exception_int_div_zero 0
	.end_amdhsa_kernel
	.section	.text._ZN2at6native12_GLOBAL__N_135_unfold_backward_elementwise_kernelILi256ELi4EZNS1_32_unfold_backward_internal_kernelIhEEvRNS_14TensorIteratorEllllllEUliE_EEviT1_,"axG",@progbits,_ZN2at6native12_GLOBAL__N_135_unfold_backward_elementwise_kernelILi256ELi4EZNS1_32_unfold_backward_internal_kernelIhEEvRNS_14TensorIteratorEllllllEUliE_EEviT1_,comdat
.Lfunc_end0:
	.size	_ZN2at6native12_GLOBAL__N_135_unfold_backward_elementwise_kernelILi256ELi4EZNS1_32_unfold_backward_internal_kernelIhEEvRNS_14TensorIteratorEllllllEUliE_EEviT1_, .Lfunc_end0-_ZN2at6native12_GLOBAL__N_135_unfold_backward_elementwise_kernelILi256ELi4EZNS1_32_unfold_backward_internal_kernelIhEEvRNS_14TensorIteratorEllllllEUliE_EEviT1_
                                        ; -- End function
	.set _ZN2at6native12_GLOBAL__N_135_unfold_backward_elementwise_kernelILi256ELi4EZNS1_32_unfold_backward_internal_kernelIhEEvRNS_14TensorIteratorEllllllEUliE_EEviT1_.num_vgpr, 20
	.set _ZN2at6native12_GLOBAL__N_135_unfold_backward_elementwise_kernelILi256ELi4EZNS1_32_unfold_backward_internal_kernelIhEEvRNS_14TensorIteratorEllllllEUliE_EEviT1_.num_agpr, 0
	.set _ZN2at6native12_GLOBAL__N_135_unfold_backward_elementwise_kernelILi256ELi4EZNS1_32_unfold_backward_internal_kernelIhEEvRNS_14TensorIteratorEllllllEUliE_EEviT1_.numbered_sgpr, 73
	.set _ZN2at6native12_GLOBAL__N_135_unfold_backward_elementwise_kernelILi256ELi4EZNS1_32_unfold_backward_internal_kernelIhEEvRNS_14TensorIteratorEllllllEUliE_EEviT1_.num_named_barrier, 0
	.set _ZN2at6native12_GLOBAL__N_135_unfold_backward_elementwise_kernelILi256ELi4EZNS1_32_unfold_backward_internal_kernelIhEEvRNS_14TensorIteratorEllllllEUliE_EEviT1_.private_seg_size, 0
	.set _ZN2at6native12_GLOBAL__N_135_unfold_backward_elementwise_kernelILi256ELi4EZNS1_32_unfold_backward_internal_kernelIhEEvRNS_14TensorIteratorEllllllEUliE_EEviT1_.uses_vcc, 1
	.set _ZN2at6native12_GLOBAL__N_135_unfold_backward_elementwise_kernelILi256ELi4EZNS1_32_unfold_backward_internal_kernelIhEEvRNS_14TensorIteratorEllllllEUliE_EEviT1_.uses_flat_scratch, 0
	.set _ZN2at6native12_GLOBAL__N_135_unfold_backward_elementwise_kernelILi256ELi4EZNS1_32_unfold_backward_internal_kernelIhEEvRNS_14TensorIteratorEllllllEUliE_EEviT1_.has_dyn_sized_stack, 0
	.set _ZN2at6native12_GLOBAL__N_135_unfold_backward_elementwise_kernelILi256ELi4EZNS1_32_unfold_backward_internal_kernelIhEEvRNS_14TensorIteratorEllllllEUliE_EEviT1_.has_recursion, 0
	.set _ZN2at6native12_GLOBAL__N_135_unfold_backward_elementwise_kernelILi256ELi4EZNS1_32_unfold_backward_internal_kernelIhEEvRNS_14TensorIteratorEllllllEUliE_EEviT1_.has_indirect_call, 0
	.section	.AMDGPU.csdata,"",@progbits
; Kernel info:
; codeLenInByte = 10916
; TotalNumSgprs: 79
; NumVgprs: 20
; NumAgprs: 0
; TotalNumVgprs: 20
; ScratchSize: 0
; MemoryBound: 0
; FloatMode: 240
; IeeeMode: 1
; LDSByteSize: 0 bytes/workgroup (compile time only)
; SGPRBlocks: 9
; VGPRBlocks: 2
; NumSGPRsForWavesPerEU: 79
; NumVGPRsForWavesPerEU: 20
; AccumOffset: 20
; Occupancy: 8
; WaveLimiterHint : 1
; COMPUTE_PGM_RSRC2:SCRATCH_EN: 0
; COMPUTE_PGM_RSRC2:USER_SGPR: 2
; COMPUTE_PGM_RSRC2:TRAP_HANDLER: 0
; COMPUTE_PGM_RSRC2:TGID_X_EN: 1
; COMPUTE_PGM_RSRC2:TGID_Y_EN: 0
; COMPUTE_PGM_RSRC2:TGID_Z_EN: 0
; COMPUTE_PGM_RSRC2:TIDIG_COMP_CNT: 0
; COMPUTE_PGM_RSRC3_GFX90A:ACCUM_OFFSET: 4
; COMPUTE_PGM_RSRC3_GFX90A:TG_SPLIT: 0
	.section	.text._ZN2at6native12_GLOBAL__N_135_unfold_backward_elementwise_kernelILi256ELi4EZNS1_32_unfold_backward_internal_kernelIaEEvRNS_14TensorIteratorEllllllEUliE_EEviT1_,"axG",@progbits,_ZN2at6native12_GLOBAL__N_135_unfold_backward_elementwise_kernelILi256ELi4EZNS1_32_unfold_backward_internal_kernelIaEEvRNS_14TensorIteratorEllllllEUliE_EEviT1_,comdat
	.globl	_ZN2at6native12_GLOBAL__N_135_unfold_backward_elementwise_kernelILi256ELi4EZNS1_32_unfold_backward_internal_kernelIaEEvRNS_14TensorIteratorEllllllEUliE_EEviT1_ ; -- Begin function _ZN2at6native12_GLOBAL__N_135_unfold_backward_elementwise_kernelILi256ELi4EZNS1_32_unfold_backward_internal_kernelIaEEvRNS_14TensorIteratorEllllllEUliE_EEviT1_
	.p2align	8
	.type	_ZN2at6native12_GLOBAL__N_135_unfold_backward_elementwise_kernelILi256ELi4EZNS1_32_unfold_backward_internal_kernelIaEEvRNS_14TensorIteratorEllllllEUliE_EEviT1_,@function
_ZN2at6native12_GLOBAL__N_135_unfold_backward_elementwise_kernelILi256ELi4EZNS1_32_unfold_backward_internal_kernelIaEEvRNS_14TensorIteratorEllllllEUliE_EEviT1_: ; @_ZN2at6native12_GLOBAL__N_135_unfold_backward_elementwise_kernelILi256ELi4EZNS1_32_unfold_backward_internal_kernelIaEEvRNS_14TensorIteratorEllllllEUliE_EEviT1_
; %bb.0:
	s_load_dword s70, s[0:1], 0x0
	s_load_dwordx8 s[20:27], s[0:1], 0x8
	v_lshl_or_b32 v14, s2, 10, v0
	s_waitcnt lgkmcnt(0)
	s_add_u32 s27, s0, 8
	s_load_dwordx16 s[4:19], s[0:1], 0x190
	s_load_dwordx4 s[28:31], s[0:1], 0xcc
	s_load_dwordx2 s[34:35], s[0:1], 0xdc
	s_addc_u32 s33, s1, 0
	v_sub_co_u32_e64 v0, s[2:3], s20, 1
	s_nop 0
	v_readfirstlane_b32 s68, v0
	s_xor_b64 s[64:65], s[2:3], -1
	s_or_b32 s62, s0, 12
	s_min_u32 s69, s68, 15
	s_mov_b32 s63, s1
	s_cmp_gt_u32 s20, 1
	v_cmp_lt_u32_e64 s[0:1], 1, v0
	s_cselect_b64 s[60:61], -1, 0
	s_waitcnt lgkmcnt(0)
	s_add_u32 s14, s14, -1
	v_cndmask_b32_e64 v0, 0, 1, s[0:1]
	s_mov_b64 s[2:3], -1
	s_addc_u32 s15, s15, -1
	v_cmp_gt_i32_e32 vcc, s70, v14
	v_cmp_ne_u32_e64 s[0:1], 1, v0
	s_and_saveexec_b64 s[66:67], vcc
	s_cbranch_execnz .LBB1_4
; %bb.1:
	s_or_b64 exec, exec, s[66:67]
	v_cmp_gt_i32_e32 vcc, s70, v14
	s_and_saveexec_b64 s[66:67], vcc
	s_cbranch_execnz .LBB1_31
.LBB1_2:
	s_or_b64 exec, exec, s[66:67]
	v_cmp_gt_i32_e32 vcc, s70, v14
	s_and_saveexec_b64 s[66:67], vcc
	s_cbranch_execnz .LBB1_58
.LBB1_3:
	s_or_b64 exec, exec, s[66:67]
	v_cmp_gt_i32_e32 vcc, s70, v14
	s_and_saveexec_b64 s[2:3], vcc
	s_cbranch_execnz .LBB1_85
	s_branch .LBB1_111
.LBB1_4:
	s_and_b64 vcc, exec, s[0:1]
                                        ; implicit-def: $vgpr4
                                        ; implicit-def: $vgpr0
                                        ; implicit-def: $vgpr2
	s_cbranch_vccnz .LBB1_14
; %bb.5:
	v_mov_b32_e32 v4, 0
	s_andn2_b64 vcc, exec, s[64:65]
	v_mov_b32_e32 v0, 0
	v_mov_b32_e32 v2, 0
	s_cbranch_vccnz .LBB1_13
; %bb.6:
	s_add_i32 s71, s69, 1
	s_cmp_eq_u32 s68, 2
	s_cbranch_scc1 .LBB1_10
; %bb.7:
	s_and_b32 s20, s71, 28
	v_mov_b32_e32 v2, 0
	s_mov_b32 s72, 0
	s_mov_b64 s[2:3], s[62:63]
	v_mov_b32_e32 v6, v14
	v_mov_b32_e32 v0, 0
	;; [unrolled: 1-line block ×3, first 2 shown]
.LBB1_8:                                ; =>This Inner Loop Header: Depth=1
	s_load_dwordx8 s[36:43], s[2:3], 0x0
	s_load_dwordx4 s[52:55], s[2:3], 0x20
	s_load_dwordx4 s[56:59], s[2:3], 0xe0
	s_load_dwordx8 s[44:51], s[2:3], 0xc0
	s_add_i32 s72, s72, 4
	s_waitcnt lgkmcnt(0)
	v_mul_hi_u32 v1, s37, v6
	v_add_u32_e32 v1, v6, v1
	v_lshrrev_b32_e32 v1, s38, v1
	v_mul_hi_u32 v5, s40, v1
	v_add_u32_e32 v5, v1, v5
	v_lshrrev_b32_e32 v5, s41, v5
	v_mul_lo_u32 v3, v1, s36
	v_mul_lo_u32 v8, v5, s39
	v_mul_hi_u32 v9, s43, v5
	v_sub_u32_e32 v3, v6, v3
	v_sub_u32_e32 v1, v1, v8
	v_add_u32_e32 v8, v5, v9
	v_mul_lo_u32 v6, v3, s44
	v_mul_lo_u32 v7, v3, s46
	;; [unrolled: 1-line block ×6, first 2 shown]
	v_lshrrev_b32_e32 v8, s52, v8
	v_add3_u32 v0, v3, v0, v1
	v_add3_u32 v1, v7, v4, v10
	v_mul_hi_u32 v4, s54, v8
	v_add_u32_e32 v4, v8, v4
	v_add3_u32 v2, v6, v2, v9
	v_lshrrev_b32_e32 v6, s55, v4
	v_mul_lo_u32 v3, v8, s42
	v_mul_lo_u32 v4, v6, s53
	s_add_u32 s2, s2, 48
	v_sub_u32_e32 v3, v5, v3
	v_sub_u32_e32 v4, v8, v4
	s_addc_u32 s3, s3, 0
	v_mul_lo_u32 v5, v3, s50
	v_mul_lo_u32 v7, v3, s51
	;; [unrolled: 1-line block ×6, first 2 shown]
	s_cmp_lg_u32 s20, s72
	v_add3_u32 v2, v5, v2, v8
	v_add3_u32 v4, v3, v1, v4
	;; [unrolled: 1-line block ×3, first 2 shown]
	s_cbranch_scc1 .LBB1_8
; %bb.9:
	v_mov_b32_e32 v1, v4
	s_and_b32 s36, s71, 3
	s_cmp_eq_u32 s36, 0
	s_cbranch_scc0 .LBB1_11
	s_branch .LBB1_13
.LBB1_10:
	v_mov_b32_e32 v0, 0
	s_mov_b32 s20, 0
	v_mov_b32_e32 v1, v0
                                        ; implicit-def: $vgpr4
	v_mov_b32_e32 v6, v14
	v_mov_b32_e32 v2, v0
	s_and_b32 s36, s71, 3
	s_cmp_eq_u32 s36, 0
	s_cbranch_scc1 .LBB1_13
.LBB1_11:
	s_mul_i32 s2, s20, 12
	s_add_u32 s2, s27, s2
	s_addc_u32 s3, s33, 0
	s_add_u32 s2, s2, 4
	s_addc_u32 s3, s3, 0
.LBB1_12:                               ; =>This Inner Loop Header: Depth=1
	s_load_dwordx2 s[38:39], s[2:3], 0x0
	s_load_dword s20, s[2:3], 0x8
	s_load_dwordx2 s[40:41], s[2:3], 0xc0
	s_load_dword s37, s[2:3], 0xc8
	v_mov_b32_e32 v4, v1
	s_waitcnt lgkmcnt(0)
	v_mul_hi_u32 v1, s39, v6
	v_add_u32_e32 v1, v6, v1
	v_lshrrev_b32_e32 v1, s20, v1
	v_mul_lo_u32 v3, v1, s38
	s_add_u32 s2, s2, 12
	v_sub_u32_e32 v7, v6, v3
	s_addc_u32 s3, s3, 0
	s_add_i32 s36, s36, -1
	v_mov_b32_e32 v6, v1
	v_mad_u64_u32 v[4:5], s[38:39], v7, s37, v[4:5]
	v_mad_u64_u32 v[0:1], s[38:39], v7, s41, v[0:1]
	s_cmp_lg_u32 s36, 0
	v_mad_u64_u32 v[2:3], s[38:39], v7, s40, v[2:3]
	v_mov_b32_e32 v1, v4
	s_cbranch_scc1 .LBB1_12
.LBB1_13:
	s_mov_b64 s[2:3], 0
.LBB1_14:
	s_andn2_b64 vcc, exec, s[2:3]
	s_cbranch_vccnz .LBB1_17
; %bb.15:
	v_mul_hi_u32 v0, s22, v14
	v_add_u32_e32 v0, v14, v0
	v_lshrrev_b32_e32 v1, s23, v0
	v_mul_lo_u32 v0, v1, s21
	v_sub_u32_e32 v0, v14, v0
	v_mul_lo_u32 v2, v0, s28
	v_mul_lo_u32 v4, v0, s30
	s_andn2_b64 vcc, exec, s[60:61]
	v_mul_lo_u32 v0, v0, s29
	s_cbranch_vccnz .LBB1_17
; %bb.16:
	v_mul_hi_u32 v3, s25, v1
	v_add_u32_e32 v3, v1, v3
	v_lshrrev_b32_e32 v3, s26, v3
	v_mul_lo_u32 v3, v3, s24
	v_sub_u32_e32 v5, v1, v3
	v_mad_u64_u32 v[2:3], s[2:3], v5, s31, v[2:3]
	v_mad_u64_u32 v[0:1], s[2:3], v5, s34, v[0:1]
	;; [unrolled: 1-line block ×3, first 2 shown]
.LBB1_17:
	global_load_dwordx2 v[4:5], v4, s[8:9]
	v_mov_b64_e32 v[6:7], 0
	s_waitcnt vmcnt(0)
	v_cmp_lt_i64_e32 vcc, s[10:11], v[4:5]
	s_and_saveexec_b64 s[36:37], vcc
	s_cbranch_execz .LBB1_23
; %bb.18:
	v_mov_b32_e32 v1, s11
	v_subrev_co_u32_e32 v8, vcc, s10, v4
	v_mov_b32_e32 v10, 0
	s_nop 0
	v_subb_co_u32_e32 v9, vcc, v5, v1, vcc
	v_or_b32_e32 v11, s13, v9
	v_cmp_ne_u64_e32 vcc, 0, v[10:11]
                                        ; implicit-def: $vgpr6_vgpr7
	s_and_saveexec_b64 s[2:3], vcc
	s_xor_b64 s[38:39], exec, s[2:3]
	s_cbranch_execz .LBB1_20
; %bb.19:
	s_ashr_i32 s40, s13, 31
	s_add_u32 s2, s12, s40
	s_mov_b32 s41, s40
	s_addc_u32 s3, s13, s40
	s_xor_b64 s[42:43], s[2:3], s[40:41]
	v_cvt_f32_u32_e32 v1, s42
	v_cvt_f32_u32_e32 v3, s43
	s_sub_u32 s20, 0, s42
	s_subb_u32 s41, 0, s43
	v_ashrrev_i32_e32 v6, 31, v9
	v_fmamk_f32 v1, v3, 0x4f800000, v1
	v_rcp_f32_e32 v1, v1
	v_mov_b32_e32 v7, v6
	v_lshl_add_u64 v[8:9], v[8:9], 0, v[6:7]
	v_mov_b32_e32 v13, v10
	v_mul_f32_e32 v1, 0x5f7ffffc, v1
	v_mul_f32_e32 v3, 0x2f800000, v1
	v_trunc_f32_e32 v3, v3
	v_fmamk_f32 v1, v3, 0xcf800000, v1
	v_cvt_u32_f32_e32 v3, v3
	v_cvt_u32_f32_e32 v1, v1
	v_readfirstlane_b32 s44, v3
	v_readfirstlane_b32 s2, v1
	s_mul_i32 s3, s20, s44
	s_mul_hi_u32 s46, s20, s2
	s_mul_i32 s45, s41, s2
	s_add_i32 s3, s46, s3
	s_add_i32 s3, s3, s45
	s_mul_i32 s47, s20, s2
	s_mul_i32 s46, s2, s3
	s_mul_hi_u32 s48, s2, s47
	s_mul_hi_u32 s45, s2, s3
	s_add_u32 s46, s48, s46
	s_addc_u32 s45, 0, s45
	s_mul_hi_u32 s49, s44, s47
	s_mul_i32 s47, s44, s47
	s_add_u32 s46, s46, s47
	s_mul_hi_u32 s48, s44, s3
	s_addc_u32 s45, s45, s49
	s_addc_u32 s46, s48, 0
	s_mul_i32 s3, s44, s3
	s_add_u32 s3, s45, s3
	s_addc_u32 s45, 0, s46
	s_add_u32 s46, s2, s3
	s_cselect_b64 s[2:3], -1, 0
	s_cmp_lg_u64 s[2:3], 0
	s_addc_u32 s44, s44, s45
	s_mul_i32 s2, s20, s44
	s_mul_hi_u32 s3, s20, s46
	s_add_i32 s2, s3, s2
	s_mul_i32 s41, s41, s46
	s_add_i32 s2, s2, s41
	s_mul_i32 s20, s20, s46
	s_mul_hi_u32 s41, s44, s20
	s_mul_i32 s45, s44, s20
	s_mul_i32 s48, s46, s2
	s_mul_hi_u32 s20, s46, s20
	s_mul_hi_u32 s47, s46, s2
	s_add_u32 s20, s20, s48
	s_addc_u32 s47, 0, s47
	s_add_u32 s20, s20, s45
	s_mul_hi_u32 s3, s44, s2
	s_addc_u32 s20, s47, s41
	s_addc_u32 s3, s3, 0
	s_mul_i32 s2, s44, s2
	s_add_u32 s2, s20, s2
	s_addc_u32 s20, 0, s3
	s_add_u32 s41, s46, s2
	s_cselect_b64 s[2:3], -1, 0
	s_cmp_lg_u64 s[2:3], 0
	s_addc_u32 s20, s44, s20
	v_xor_b32_e32 v3, v8, v6
	v_xor_b32_e32 v1, v9, v6
	v_mad_u64_u32 v[8:9], s[2:3], v3, s20, 0
	v_mul_hi_u32 v12, v3, s41
	v_lshl_add_u64 v[8:9], v[12:13], 0, v[8:9]
	v_mad_u64_u32 v[16:17], s[2:3], v1, s41, 0
	v_add_co_u32_e32 v7, vcc, v8, v16
	v_mad_u64_u32 v[12:13], s[2:3], v1, s20, 0
	s_nop 0
	v_addc_co_u32_e32 v8, vcc, v9, v17, vcc
	v_mov_b32_e32 v9, v10
	s_nop 0
	v_addc_co_u32_e32 v13, vcc, 0, v13, vcc
	v_lshl_add_u64 v[8:9], v[8:9], 0, v[12:13]
	v_mul_lo_u32 v7, s43, v8
	v_mul_lo_u32 v12, s42, v9
	v_mad_u64_u32 v[10:11], s[2:3], s42, v8, 0
	v_add3_u32 v7, v11, v12, v7
	v_sub_u32_e32 v11, v1, v7
	v_mov_b32_e32 v12, s43
	v_sub_co_u32_e32 v3, vcc, v3, v10
	s_nop 1
	v_subb_co_u32_e64 v10, s[2:3], v11, v12, vcc
	v_subrev_co_u32_e64 v11, s[2:3], s42, v3
	v_subb_co_u32_e32 v1, vcc, v1, v7, vcc
	s_nop 0
	v_subbrev_co_u32_e64 v10, s[2:3], 0, v10, s[2:3]
	v_cmp_le_u32_e64 s[2:3], s43, v10
	v_cmp_le_u32_e32 vcc, s43, v1
	s_nop 0
	v_cndmask_b32_e64 v12, 0, -1, s[2:3]
	v_cmp_le_u32_e64 s[2:3], s42, v11
	v_cndmask_b32_e64 v7, 0, -1, vcc
	v_cmp_le_u32_e32 vcc, s42, v3
	v_cndmask_b32_e64 v11, 0, -1, s[2:3]
	v_cmp_eq_u32_e64 s[2:3], s43, v10
	v_cndmask_b32_e64 v3, 0, -1, vcc
	v_cmp_eq_u32_e32 vcc, s43, v1
	v_cndmask_b32_e64 v15, v12, v11, s[2:3]
	v_lshl_add_u64 v[10:11], v[8:9], 0, 2
	v_lshl_add_u64 v[12:13], v[8:9], 0, 1
	v_cmp_ne_u32_e64 s[2:3], 0, v15
	v_cndmask_b32_e32 v1, v7, v3, vcc
	v_cmp_ne_u32_e32 vcc, 0, v1
	v_cndmask_b32_e64 v3, v12, v10, s[2:3]
	v_cndmask_b32_e64 v11, v13, v11, s[2:3]
	v_cndmask_b32_e32 v3, v8, v3, vcc
	v_xor_b32_e32 v7, s40, v6
	v_cndmask_b32_e32 v1, v9, v11, vcc
	v_xor_b32_e32 v3, v3, v7
	v_xor_b32_e32 v1, v1, v7
	v_sub_co_u32_e32 v6, vcc, v3, v7
                                        ; implicit-def: $vgpr8
	s_nop 1
	v_subb_co_u32_e32 v7, vcc, v1, v7, vcc
.LBB1_20:
	s_andn2_saveexec_b64 s[2:3], s[38:39]
	s_cbranch_execz .LBB1_22
; %bb.21:
	v_cvt_f32_u32_e32 v1, s12
	s_sub_i32 s20, 0, s12
	v_rcp_iflag_f32_e32 v1, v1
	s_nop 0
	v_mul_f32_e32 v1, 0x4f7ffffe, v1
	v_cvt_u32_f32_e32 v1, v1
	v_mul_lo_u32 v3, s20, v1
	v_mul_hi_u32 v3, v1, v3
	v_add_u32_e32 v1, v1, v3
	v_mul_hi_u32 v1, v8, v1
	v_mul_lo_u32 v3, v1, s12
	v_sub_u32_e32 v3, v8, v3
	v_add_u32_e32 v6, 1, v1
	v_subrev_u32_e32 v7, s12, v3
	v_cmp_le_u32_e32 vcc, s12, v3
	s_nop 1
	v_cndmask_b32_e32 v3, v3, v7, vcc
	v_cndmask_b32_e32 v1, v1, v6, vcc
	v_add_u32_e32 v6, 1, v1
	v_cmp_le_u32_e32 vcc, s12, v3
	v_mov_b32_e32 v7, 0
	s_nop 0
	v_cndmask_b32_e32 v6, v1, v6, vcc
.LBB1_22:
	s_or_b64 exec, exec, s[2:3]
.LBB1_23:
	s_or_b64 exec, exec, s[36:37]
	v_or_b32_e32 v9, s13, v5
	v_mov_b32_e32 v8, 0
	v_cmp_ne_u64_e32 vcc, 0, v[8:9]
                                        ; implicit-def: $vgpr10_vgpr11
	s_and_saveexec_b64 s[2:3], vcc
	s_xor_b64 s[36:37], exec, s[2:3]
	s_cbranch_execz .LBB1_25
; %bb.24:
	s_ashr_i32 s38, s13, 31
	s_add_u32 s2, s12, s38
	s_mov_b32 s39, s38
	s_addc_u32 s3, s13, s38
	s_xor_b64 s[40:41], s[2:3], s[38:39]
	v_cvt_f32_u32_e32 v1, s40
	v_cvt_f32_u32_e32 v3, s41
	s_sub_u32 s20, 0, s40
	s_subb_u32 s39, 0, s41
	v_ashrrev_i32_e32 v10, 31, v5
	v_fmamk_f32 v1, v3, 0x4f800000, v1
	v_rcp_f32_e32 v1, v1
	v_mov_b32_e32 v11, v10
	v_lshl_add_u64 v[12:13], v[4:5], 0, v[10:11]
	v_mov_b32_e32 v17, v8
	v_mul_f32_e32 v1, 0x5f7ffffc, v1
	v_mul_f32_e32 v3, 0x2f800000, v1
	v_trunc_f32_e32 v3, v3
	v_fmamk_f32 v1, v3, 0xcf800000, v1
	v_cvt_u32_f32_e32 v3, v3
	v_cvt_u32_f32_e32 v1, v1
	v_readfirstlane_b32 s42, v3
	v_readfirstlane_b32 s2, v1
	s_mul_i32 s3, s20, s42
	s_mul_hi_u32 s44, s20, s2
	s_mul_i32 s43, s39, s2
	s_add_i32 s3, s44, s3
	s_add_i32 s3, s3, s43
	s_mul_i32 s45, s20, s2
	s_mul_i32 s44, s2, s3
	s_mul_hi_u32 s46, s2, s45
	s_mul_hi_u32 s43, s2, s3
	s_add_u32 s44, s46, s44
	s_addc_u32 s43, 0, s43
	s_mul_hi_u32 s47, s42, s45
	s_mul_i32 s45, s42, s45
	s_add_u32 s44, s44, s45
	s_mul_hi_u32 s46, s42, s3
	s_addc_u32 s43, s43, s47
	s_addc_u32 s44, s46, 0
	s_mul_i32 s3, s42, s3
	s_add_u32 s3, s43, s3
	s_addc_u32 s43, 0, s44
	s_add_u32 s44, s2, s3
	s_cselect_b64 s[2:3], -1, 0
	s_cmp_lg_u64 s[2:3], 0
	s_addc_u32 s42, s42, s43
	s_mul_i32 s2, s20, s42
	s_mul_hi_u32 s3, s20, s44
	s_add_i32 s2, s3, s2
	s_mul_i32 s39, s39, s44
	s_add_i32 s2, s2, s39
	s_mul_i32 s20, s20, s44
	s_mul_hi_u32 s39, s42, s20
	s_mul_i32 s43, s42, s20
	s_mul_i32 s46, s44, s2
	s_mul_hi_u32 s20, s44, s20
	s_mul_hi_u32 s45, s44, s2
	s_add_u32 s20, s20, s46
	s_addc_u32 s45, 0, s45
	s_add_u32 s20, s20, s43
	s_mul_hi_u32 s3, s42, s2
	s_addc_u32 s20, s45, s39
	s_addc_u32 s3, s3, 0
	s_mul_i32 s2, s42, s2
	s_add_u32 s2, s20, s2
	s_addc_u32 s20, 0, s3
	s_add_u32 s39, s44, s2
	s_cselect_b64 s[2:3], -1, 0
	s_cmp_lg_u64 s[2:3], 0
	s_addc_u32 s20, s42, s20
	v_xor_b32_e32 v3, v12, v10
	v_xor_b32_e32 v1, v13, v10
	v_mad_u64_u32 v[12:13], s[2:3], v3, s20, 0
	v_mul_hi_u32 v16, v3, s39
	v_lshl_add_u64 v[12:13], v[16:17], 0, v[12:13]
	v_mad_u64_u32 v[18:19], s[2:3], v1, s39, 0
	v_add_co_u32_e32 v9, vcc, v12, v18
	v_mad_u64_u32 v[16:17], s[2:3], v1, s20, 0
	s_nop 0
	v_addc_co_u32_e32 v12, vcc, v13, v19, vcc
	v_mov_b32_e32 v13, v8
	s_nop 0
	v_addc_co_u32_e32 v17, vcc, 0, v17, vcc
	v_lshl_add_u64 v[8:9], v[12:13], 0, v[16:17]
	v_mul_lo_u32 v11, s41, v8
	v_mul_lo_u32 v15, s40, v9
	v_mad_u64_u32 v[12:13], s[2:3], s40, v8, 0
	v_add3_u32 v11, v13, v15, v11
	v_sub_u32_e32 v13, v1, v11
	v_mov_b32_e32 v15, s41
	v_sub_co_u32_e32 v3, vcc, v3, v12
	v_lshl_add_u64 v[16:17], v[8:9], 0, 1
	s_nop 0
	v_subb_co_u32_e64 v12, s[2:3], v13, v15, vcc
	v_subrev_co_u32_e64 v13, s[2:3], s40, v3
	v_subb_co_u32_e32 v1, vcc, v1, v11, vcc
	s_nop 0
	v_subbrev_co_u32_e64 v12, s[2:3], 0, v12, s[2:3]
	v_cmp_le_u32_e64 s[2:3], s41, v12
	v_cmp_le_u32_e32 vcc, s41, v1
	s_nop 0
	v_cndmask_b32_e64 v15, 0, -1, s[2:3]
	v_cmp_le_u32_e64 s[2:3], s40, v13
	v_cndmask_b32_e64 v11, 0, -1, vcc
	v_cmp_le_u32_e32 vcc, s40, v3
	v_cndmask_b32_e64 v13, 0, -1, s[2:3]
	v_cmp_eq_u32_e64 s[2:3], s41, v12
	v_cndmask_b32_e64 v3, 0, -1, vcc
	v_cmp_eq_u32_e32 vcc, s41, v1
	v_cndmask_b32_e64 v15, v15, v13, s[2:3]
	v_lshl_add_u64 v[12:13], v[8:9], 0, 2
	v_cmp_ne_u32_e64 s[2:3], 0, v15
	v_cndmask_b32_e32 v1, v11, v3, vcc
	v_cmp_ne_u32_e32 vcc, 0, v1
	v_cndmask_b32_e64 v3, v16, v12, s[2:3]
	v_cndmask_b32_e64 v13, v17, v13, s[2:3]
	v_cndmask_b32_e32 v3, v8, v3, vcc
	v_xor_b32_e32 v8, s38, v10
	v_cndmask_b32_e32 v1, v9, v13, vcc
	v_xor_b32_e32 v3, v3, v8
	v_xor_b32_e32 v1, v1, v8
	v_sub_co_u32_e32 v10, vcc, v3, v8
	s_nop 1
	v_subb_co_u32_e32 v11, vcc, v1, v8, vcc
.LBB1_25:
	s_andn2_saveexec_b64 s[2:3], s[36:37]
	s_cbranch_execz .LBB1_27
; %bb.26:
	v_cvt_f32_u32_e32 v1, s12
	s_sub_i32 s20, 0, s12
	v_mov_b32_e32 v11, 0
	v_rcp_iflag_f32_e32 v1, v1
	s_nop 0
	v_mul_f32_e32 v1, 0x4f7ffffe, v1
	v_cvt_u32_f32_e32 v1, v1
	v_mul_lo_u32 v3, s20, v1
	v_mul_hi_u32 v3, v1, v3
	v_add_u32_e32 v1, v1, v3
	v_mul_hi_u32 v1, v4, v1
	v_mul_lo_u32 v3, v1, s12
	v_sub_u32_e32 v3, v4, v3
	v_add_u32_e32 v8, 1, v1
	v_subrev_u32_e32 v9, s12, v3
	v_cmp_le_u32_e32 vcc, s12, v3
	s_nop 1
	v_cndmask_b32_e32 v3, v3, v9, vcc
	v_cndmask_b32_e32 v1, v1, v8, vcc
	v_add_u32_e32 v8, 1, v1
	v_cmp_le_u32_e32 vcc, s12, v3
	s_nop 1
	v_cndmask_b32_e32 v10, v1, v8, vcc
.LBB1_27:
	s_or_b64 exec, exec, s[2:3]
	v_mul_lo_u32 v1, v7, s12
	v_mul_lo_u32 v3, v6, s13
	v_mad_u64_u32 v[8:9], s[2:3], v6, s12, 0
	v_add3_u32 v9, v9, v3, v1
	v_cmp_gt_i64_e32 vcc, v[8:9], v[4:5]
	v_mov_b64_e32 v[8:9], s[10:11]
	v_mad_u64_u32 v[8:9], s[2:3], v6, s12, v[8:9]
	v_add3_u32 v9, v1, v9, v3
	v_cmp_ge_i64_e64 s[2:3], v[4:5], v[8:9]
	s_or_b64 s[2:3], vcc, s[2:3]
	v_mov_b32_e32 v1, s15
	v_cndmask_b32_e64 v8, 0, 1, s[2:3]
	s_mov_b32 s2, 0
	v_mov_b32_e32 v9, s2
	v_cmp_gt_i64_e32 vcc, s[14:15], v[10:11]
	v_lshl_add_u64 v[12:13], v[6:7], 0, v[8:9]
	s_nop 0
	v_cndmask_b32_e32 v7, v1, v11, vcc
	v_mov_b32_e32 v1, s14
	v_cndmask_b32_e32 v6, v1, v10, vcc
	v_cmp_le_i64_e32 vcc, v[12:13], v[6:7]
	s_and_saveexec_b64 s[2:3], vcc
	s_cbranch_execz .LBB1_30
; %bb.28:
	global_load_ubyte v10, v2, s[4:5]
	v_mul_lo_u32 v11, s13, v12
	v_mul_lo_u32 v15, s12, v13
	v_mad_u64_u32 v[16:17], s[36:37], s12, v12, 0
	v_mov_b32_e32 v3, 0
	v_add3_u32 v11, v17, v15, v11
	v_sub_co_u32_e32 v15, vcc, v4, v16
	v_lshl_add_u64 v[8:9], s[4:5], 0, v[2:3]
	v_mov_b32_e32 v1, v3
	v_lshl_add_u64 v[2:3], v[12:13], 0, -1
	v_subb_co_u32_e32 v11, vcc, v5, v11, vcc
	v_mul_lo_u32 v16, s17, v12
	v_mul_lo_u32 v13, s16, v13
	v_mad_u64_u32 v[4:5], s[36:37], s16, v12, 0
	v_add3_u32 v5, v5, v13, v16
	v_mad_u64_u32 v[4:5], s[36:37], s18, v15, v[4:5]
	s_mul_i32 s20, s12, s19
	s_mul_hi_u32 s36, s12, s18
	v_mul_lo_u32 v11, s18, v11
	v_mul_lo_u32 v12, s19, v15
	s_add_i32 s20, s36, s20
	s_mul_i32 s36, s13, s18
	v_add3_u32 v5, v12, v5, v11
	s_add_i32 s20, s20, s36
	s_mul_i32 s36, s12, s18
	v_lshl_add_u64 v[0:1], v[4:5], 0, v[0:1]
	s_sub_u32 s36, s16, s36
	v_lshl_add_u64 v[0:1], s[6:7], 0, v[0:1]
	s_subb_u32 s37, s17, s20
	s_mov_b64 s[38:39], 0
.LBB1_29:                               ; =>This Inner Loop Header: Depth=1
	global_load_ubyte v4, v[0:1], off
	v_lshl_add_u64 v[2:3], v[2:3], 0, 1
	v_cmp_ge_i64_e32 vcc, v[2:3], v[6:7]
	v_lshl_add_u64 v[0:1], v[0:1], 0, s[36:37]
	s_or_b64 s[38:39], vcc, s[38:39]
	s_waitcnt vmcnt(0)
	v_add_u16_e32 v10, v4, v10
	global_store_byte v[8:9], v10, off
	s_andn2_b64 exec, exec, s[38:39]
	s_cbranch_execnz .LBB1_29
.LBB1_30:
	s_or_b64 exec, exec, s[2:3]
	v_add_u32_e32 v14, 0x100, v14
	s_or_b64 exec, exec, s[66:67]
	v_cmp_gt_i32_e32 vcc, s70, v14
	s_and_saveexec_b64 s[66:67], vcc
	s_cbranch_execz .LBB1_2
.LBB1_31:
	s_and_b64 vcc, exec, s[0:1]
	s_cbranch_vccnz .LBB1_37
; %bb.32:
	v_mov_b32_e32 v4, 0
	s_andn2_b64 vcc, exec, s[64:65]
	v_mov_b32_e32 v0, 0
	v_mov_b32_e32 v2, 0
	s_cbranch_vccnz .LBB1_41
; %bb.33:
	s_add_i32 s71, s69, 1
	s_cmp_eq_u32 s68, 2
	s_cbranch_scc1 .LBB1_38
; %bb.34:
	s_and_b32 s20, s71, 28
	v_mov_b32_e32 v2, 0
	s_mov_b32 s72, 0
	s_mov_b64 s[2:3], s[62:63]
	v_mov_b32_e32 v6, v14
	v_mov_b32_e32 v0, 0
	;; [unrolled: 1-line block ×3, first 2 shown]
.LBB1_35:                               ; =>This Inner Loop Header: Depth=1
	s_load_dwordx8 s[36:43], s[2:3], 0x0
	s_load_dwordx4 s[52:55], s[2:3], 0x20
	s_load_dwordx4 s[56:59], s[2:3], 0xe0
	s_load_dwordx8 s[44:51], s[2:3], 0xc0
	s_add_i32 s72, s72, 4
	s_waitcnt lgkmcnt(0)
	v_mul_hi_u32 v1, s37, v6
	v_add_u32_e32 v1, v6, v1
	v_lshrrev_b32_e32 v1, s38, v1
	v_mul_hi_u32 v5, s40, v1
	v_add_u32_e32 v5, v1, v5
	v_lshrrev_b32_e32 v5, s41, v5
	v_mul_lo_u32 v3, v1, s36
	v_mul_lo_u32 v8, v5, s39
	v_mul_hi_u32 v9, s43, v5
	v_sub_u32_e32 v3, v6, v3
	v_sub_u32_e32 v1, v1, v8
	v_add_u32_e32 v8, v5, v9
	v_mul_lo_u32 v6, v3, s44
	v_mul_lo_u32 v7, v3, s46
	;; [unrolled: 1-line block ×6, first 2 shown]
	v_lshrrev_b32_e32 v8, s52, v8
	v_add3_u32 v0, v3, v0, v1
	v_add3_u32 v1, v7, v4, v10
	v_mul_hi_u32 v4, s54, v8
	v_add_u32_e32 v4, v8, v4
	v_add3_u32 v2, v6, v2, v9
	v_lshrrev_b32_e32 v6, s55, v4
	v_mul_lo_u32 v3, v8, s42
	v_mul_lo_u32 v4, v6, s53
	s_add_u32 s2, s2, 48
	v_sub_u32_e32 v3, v5, v3
	v_sub_u32_e32 v4, v8, v4
	s_addc_u32 s3, s3, 0
	v_mul_lo_u32 v5, v3, s50
	v_mul_lo_u32 v7, v3, s51
	;; [unrolled: 1-line block ×6, first 2 shown]
	s_cmp_eq_u32 s20, s72
	v_add3_u32 v2, v5, v2, v8
	v_add3_u32 v4, v3, v1, v4
	;; [unrolled: 1-line block ×3, first 2 shown]
	s_cbranch_scc0 .LBB1_35
; %bb.36:
	v_mov_b32_e32 v1, v4
	s_and_b32 s36, s71, 3
	s_cmp_eq_u32 s36, 0
	s_cbranch_scc0 .LBB1_39
	s_branch .LBB1_41
.LBB1_37:
                                        ; implicit-def: $vgpr4
                                        ; implicit-def: $vgpr0
                                        ; implicit-def: $vgpr2
	s_branch .LBB1_42
.LBB1_38:
	v_mov_b32_e32 v0, 0
	s_mov_b32 s20, 0
	v_mov_b32_e32 v1, v0
                                        ; implicit-def: $vgpr4
	v_mov_b32_e32 v6, v14
	v_mov_b32_e32 v2, v0
	s_and_b32 s36, s71, 3
	s_cmp_eq_u32 s36, 0
	s_cbranch_scc1 .LBB1_41
.LBB1_39:
	s_mul_i32 s2, s20, 12
	s_add_u32 s2, s27, s2
	s_addc_u32 s3, s33, 0
	s_add_u32 s2, s2, 4
	s_addc_u32 s3, s3, 0
.LBB1_40:                               ; =>This Inner Loop Header: Depth=1
	s_load_dwordx2 s[38:39], s[2:3], 0x0
	s_load_dword s20, s[2:3], 0x8
	s_load_dwordx2 s[40:41], s[2:3], 0xc0
	s_load_dword s37, s[2:3], 0xc8
	v_mov_b32_e32 v4, v1
	s_waitcnt lgkmcnt(0)
	v_mul_hi_u32 v1, s39, v6
	v_add_u32_e32 v1, v6, v1
	v_lshrrev_b32_e32 v1, s20, v1
	v_mul_lo_u32 v3, v1, s38
	s_add_u32 s2, s2, 12
	v_sub_u32_e32 v7, v6, v3
	s_addc_u32 s3, s3, 0
	s_add_i32 s36, s36, -1
	v_mov_b32_e32 v6, v1
	v_mad_u64_u32 v[4:5], s[38:39], v7, s37, v[4:5]
	v_mad_u64_u32 v[0:1], s[38:39], v7, s41, v[0:1]
	s_cmp_lg_u32 s36, 0
	v_mad_u64_u32 v[2:3], s[38:39], v7, s40, v[2:3]
	v_mov_b32_e32 v1, v4
	s_cbranch_scc1 .LBB1_40
.LBB1_41:
	s_cbranch_execnz .LBB1_44
.LBB1_42:
	v_mul_hi_u32 v0, s22, v14
	v_add_u32_e32 v0, v14, v0
	v_lshrrev_b32_e32 v1, s23, v0
	v_mul_lo_u32 v0, v1, s21
	v_sub_u32_e32 v0, v14, v0
	v_mul_lo_u32 v2, v0, s28
	v_mul_lo_u32 v4, v0, s30
	s_andn2_b64 vcc, exec, s[60:61]
	v_mul_lo_u32 v0, v0, s29
	s_cbranch_vccnz .LBB1_44
; %bb.43:
	v_mul_hi_u32 v3, s25, v1
	v_add_u32_e32 v3, v1, v3
	v_lshrrev_b32_e32 v3, s26, v3
	v_mul_lo_u32 v3, v3, s24
	v_sub_u32_e32 v5, v1, v3
	v_mad_u64_u32 v[2:3], s[2:3], v5, s31, v[2:3]
	v_mad_u64_u32 v[0:1], s[2:3], v5, s34, v[0:1]
	;; [unrolled: 1-line block ×3, first 2 shown]
.LBB1_44:
	global_load_dwordx2 v[4:5], v4, s[8:9]
	v_mov_b64_e32 v[6:7], 0
	s_waitcnt vmcnt(0)
	v_cmp_lt_i64_e32 vcc, s[10:11], v[4:5]
	s_and_saveexec_b64 s[36:37], vcc
	s_cbranch_execz .LBB1_50
; %bb.45:
	v_mov_b32_e32 v1, s11
	v_subrev_co_u32_e32 v8, vcc, s10, v4
	v_mov_b32_e32 v10, 0
	s_nop 0
	v_subb_co_u32_e32 v9, vcc, v5, v1, vcc
	v_or_b32_e32 v11, s13, v9
	v_cmp_ne_u64_e32 vcc, 0, v[10:11]
                                        ; implicit-def: $vgpr6_vgpr7
	s_and_saveexec_b64 s[2:3], vcc
	s_xor_b64 s[38:39], exec, s[2:3]
	s_cbranch_execz .LBB1_47
; %bb.46:
	s_ashr_i32 s40, s13, 31
	s_add_u32 s2, s12, s40
	s_mov_b32 s41, s40
	s_addc_u32 s3, s13, s40
	s_xor_b64 s[42:43], s[2:3], s[40:41]
	v_cvt_f32_u32_e32 v1, s42
	v_cvt_f32_u32_e32 v3, s43
	s_sub_u32 s20, 0, s42
	s_subb_u32 s41, 0, s43
	v_ashrrev_i32_e32 v6, 31, v9
	v_fmamk_f32 v1, v3, 0x4f800000, v1
	v_rcp_f32_e32 v1, v1
	v_mov_b32_e32 v7, v6
	v_lshl_add_u64 v[8:9], v[8:9], 0, v[6:7]
	v_mov_b32_e32 v13, v10
	v_mul_f32_e32 v1, 0x5f7ffffc, v1
	v_mul_f32_e32 v3, 0x2f800000, v1
	v_trunc_f32_e32 v3, v3
	v_fmamk_f32 v1, v3, 0xcf800000, v1
	v_cvt_u32_f32_e32 v3, v3
	v_cvt_u32_f32_e32 v1, v1
	v_readfirstlane_b32 s44, v3
	v_readfirstlane_b32 s2, v1
	s_mul_i32 s3, s20, s44
	s_mul_hi_u32 s46, s20, s2
	s_mul_i32 s45, s41, s2
	s_add_i32 s3, s46, s3
	s_add_i32 s3, s3, s45
	s_mul_i32 s47, s20, s2
	s_mul_i32 s46, s2, s3
	s_mul_hi_u32 s48, s2, s47
	s_mul_hi_u32 s45, s2, s3
	s_add_u32 s46, s48, s46
	s_addc_u32 s45, 0, s45
	s_mul_hi_u32 s49, s44, s47
	s_mul_i32 s47, s44, s47
	s_add_u32 s46, s46, s47
	s_mul_hi_u32 s48, s44, s3
	s_addc_u32 s45, s45, s49
	s_addc_u32 s46, s48, 0
	s_mul_i32 s3, s44, s3
	s_add_u32 s3, s45, s3
	s_addc_u32 s45, 0, s46
	s_add_u32 s46, s2, s3
	s_cselect_b64 s[2:3], -1, 0
	s_cmp_lg_u64 s[2:3], 0
	s_addc_u32 s44, s44, s45
	s_mul_i32 s2, s20, s44
	s_mul_hi_u32 s3, s20, s46
	s_add_i32 s2, s3, s2
	s_mul_i32 s41, s41, s46
	s_add_i32 s2, s2, s41
	s_mul_i32 s20, s20, s46
	s_mul_hi_u32 s41, s44, s20
	s_mul_i32 s45, s44, s20
	s_mul_i32 s48, s46, s2
	s_mul_hi_u32 s20, s46, s20
	s_mul_hi_u32 s47, s46, s2
	s_add_u32 s20, s20, s48
	s_addc_u32 s47, 0, s47
	s_add_u32 s20, s20, s45
	s_mul_hi_u32 s3, s44, s2
	s_addc_u32 s20, s47, s41
	s_addc_u32 s3, s3, 0
	s_mul_i32 s2, s44, s2
	s_add_u32 s2, s20, s2
	s_addc_u32 s20, 0, s3
	s_add_u32 s41, s46, s2
	s_cselect_b64 s[2:3], -1, 0
	s_cmp_lg_u64 s[2:3], 0
	s_addc_u32 s20, s44, s20
	v_xor_b32_e32 v3, v8, v6
	v_xor_b32_e32 v1, v9, v6
	v_mad_u64_u32 v[8:9], s[2:3], v3, s20, 0
	v_mul_hi_u32 v12, v3, s41
	v_lshl_add_u64 v[8:9], v[12:13], 0, v[8:9]
	v_mad_u64_u32 v[16:17], s[2:3], v1, s41, 0
	v_add_co_u32_e32 v7, vcc, v8, v16
	v_mad_u64_u32 v[12:13], s[2:3], v1, s20, 0
	s_nop 0
	v_addc_co_u32_e32 v8, vcc, v9, v17, vcc
	v_mov_b32_e32 v9, v10
	s_nop 0
	v_addc_co_u32_e32 v13, vcc, 0, v13, vcc
	v_lshl_add_u64 v[8:9], v[8:9], 0, v[12:13]
	v_mul_lo_u32 v7, s43, v8
	v_mul_lo_u32 v12, s42, v9
	v_mad_u64_u32 v[10:11], s[2:3], s42, v8, 0
	v_add3_u32 v7, v11, v12, v7
	v_sub_u32_e32 v11, v1, v7
	v_mov_b32_e32 v12, s43
	v_sub_co_u32_e32 v3, vcc, v3, v10
	s_nop 1
	v_subb_co_u32_e64 v10, s[2:3], v11, v12, vcc
	v_subrev_co_u32_e64 v11, s[2:3], s42, v3
	v_subb_co_u32_e32 v1, vcc, v1, v7, vcc
	s_nop 0
	v_subbrev_co_u32_e64 v10, s[2:3], 0, v10, s[2:3]
	v_cmp_le_u32_e64 s[2:3], s43, v10
	v_cmp_le_u32_e32 vcc, s43, v1
	s_nop 0
	v_cndmask_b32_e64 v12, 0, -1, s[2:3]
	v_cmp_le_u32_e64 s[2:3], s42, v11
	v_cndmask_b32_e64 v7, 0, -1, vcc
	v_cmp_le_u32_e32 vcc, s42, v3
	v_cndmask_b32_e64 v11, 0, -1, s[2:3]
	v_cmp_eq_u32_e64 s[2:3], s43, v10
	v_cndmask_b32_e64 v3, 0, -1, vcc
	v_cmp_eq_u32_e32 vcc, s43, v1
	v_cndmask_b32_e64 v15, v12, v11, s[2:3]
	v_lshl_add_u64 v[10:11], v[8:9], 0, 2
	v_lshl_add_u64 v[12:13], v[8:9], 0, 1
	v_cmp_ne_u32_e64 s[2:3], 0, v15
	v_cndmask_b32_e32 v1, v7, v3, vcc
	v_cmp_ne_u32_e32 vcc, 0, v1
	v_cndmask_b32_e64 v3, v12, v10, s[2:3]
	v_cndmask_b32_e64 v11, v13, v11, s[2:3]
	v_cndmask_b32_e32 v3, v8, v3, vcc
	v_xor_b32_e32 v7, s40, v6
	v_cndmask_b32_e32 v1, v9, v11, vcc
	v_xor_b32_e32 v3, v3, v7
	v_xor_b32_e32 v1, v1, v7
	v_sub_co_u32_e32 v6, vcc, v3, v7
                                        ; implicit-def: $vgpr8
	s_nop 1
	v_subb_co_u32_e32 v7, vcc, v1, v7, vcc
.LBB1_47:
	s_andn2_saveexec_b64 s[2:3], s[38:39]
	s_cbranch_execz .LBB1_49
; %bb.48:
	v_cvt_f32_u32_e32 v1, s12
	s_sub_i32 s20, 0, s12
	v_rcp_iflag_f32_e32 v1, v1
	s_nop 0
	v_mul_f32_e32 v1, 0x4f7ffffe, v1
	v_cvt_u32_f32_e32 v1, v1
	v_mul_lo_u32 v3, s20, v1
	v_mul_hi_u32 v3, v1, v3
	v_add_u32_e32 v1, v1, v3
	v_mul_hi_u32 v1, v8, v1
	v_mul_lo_u32 v3, v1, s12
	v_sub_u32_e32 v3, v8, v3
	v_add_u32_e32 v6, 1, v1
	v_subrev_u32_e32 v7, s12, v3
	v_cmp_le_u32_e32 vcc, s12, v3
	s_nop 1
	v_cndmask_b32_e32 v3, v3, v7, vcc
	v_cndmask_b32_e32 v1, v1, v6, vcc
	v_add_u32_e32 v6, 1, v1
	v_cmp_le_u32_e32 vcc, s12, v3
	v_mov_b32_e32 v7, 0
	s_nop 0
	v_cndmask_b32_e32 v6, v1, v6, vcc
.LBB1_49:
	s_or_b64 exec, exec, s[2:3]
.LBB1_50:
	s_or_b64 exec, exec, s[36:37]
	v_or_b32_e32 v9, s13, v5
	v_mov_b32_e32 v8, 0
	v_cmp_ne_u64_e32 vcc, 0, v[8:9]
                                        ; implicit-def: $vgpr10_vgpr11
	s_and_saveexec_b64 s[2:3], vcc
	s_xor_b64 s[36:37], exec, s[2:3]
	s_cbranch_execz .LBB1_52
; %bb.51:
	s_ashr_i32 s38, s13, 31
	s_add_u32 s2, s12, s38
	s_mov_b32 s39, s38
	s_addc_u32 s3, s13, s38
	s_xor_b64 s[40:41], s[2:3], s[38:39]
	v_cvt_f32_u32_e32 v1, s40
	v_cvt_f32_u32_e32 v3, s41
	s_sub_u32 s20, 0, s40
	s_subb_u32 s39, 0, s41
	v_ashrrev_i32_e32 v10, 31, v5
	v_fmamk_f32 v1, v3, 0x4f800000, v1
	v_rcp_f32_e32 v1, v1
	v_mov_b32_e32 v11, v10
	v_lshl_add_u64 v[12:13], v[4:5], 0, v[10:11]
	v_mov_b32_e32 v17, v8
	v_mul_f32_e32 v1, 0x5f7ffffc, v1
	v_mul_f32_e32 v3, 0x2f800000, v1
	v_trunc_f32_e32 v3, v3
	v_fmamk_f32 v1, v3, 0xcf800000, v1
	v_cvt_u32_f32_e32 v3, v3
	v_cvt_u32_f32_e32 v1, v1
	v_readfirstlane_b32 s42, v3
	v_readfirstlane_b32 s2, v1
	s_mul_i32 s3, s20, s42
	s_mul_hi_u32 s44, s20, s2
	s_mul_i32 s43, s39, s2
	s_add_i32 s3, s44, s3
	s_add_i32 s3, s3, s43
	s_mul_i32 s45, s20, s2
	s_mul_i32 s44, s2, s3
	s_mul_hi_u32 s46, s2, s45
	s_mul_hi_u32 s43, s2, s3
	s_add_u32 s44, s46, s44
	s_addc_u32 s43, 0, s43
	s_mul_hi_u32 s47, s42, s45
	s_mul_i32 s45, s42, s45
	s_add_u32 s44, s44, s45
	s_mul_hi_u32 s46, s42, s3
	s_addc_u32 s43, s43, s47
	s_addc_u32 s44, s46, 0
	s_mul_i32 s3, s42, s3
	s_add_u32 s3, s43, s3
	s_addc_u32 s43, 0, s44
	s_add_u32 s44, s2, s3
	s_cselect_b64 s[2:3], -1, 0
	s_cmp_lg_u64 s[2:3], 0
	s_addc_u32 s42, s42, s43
	s_mul_i32 s2, s20, s42
	s_mul_hi_u32 s3, s20, s44
	s_add_i32 s2, s3, s2
	s_mul_i32 s39, s39, s44
	s_add_i32 s2, s2, s39
	s_mul_i32 s20, s20, s44
	s_mul_hi_u32 s39, s42, s20
	s_mul_i32 s43, s42, s20
	s_mul_i32 s46, s44, s2
	s_mul_hi_u32 s20, s44, s20
	s_mul_hi_u32 s45, s44, s2
	s_add_u32 s20, s20, s46
	s_addc_u32 s45, 0, s45
	s_add_u32 s20, s20, s43
	s_mul_hi_u32 s3, s42, s2
	s_addc_u32 s20, s45, s39
	s_addc_u32 s3, s3, 0
	s_mul_i32 s2, s42, s2
	s_add_u32 s2, s20, s2
	s_addc_u32 s20, 0, s3
	s_add_u32 s39, s44, s2
	s_cselect_b64 s[2:3], -1, 0
	s_cmp_lg_u64 s[2:3], 0
	s_addc_u32 s20, s42, s20
	v_xor_b32_e32 v3, v12, v10
	v_xor_b32_e32 v1, v13, v10
	v_mad_u64_u32 v[12:13], s[2:3], v3, s20, 0
	v_mul_hi_u32 v16, v3, s39
	v_lshl_add_u64 v[12:13], v[16:17], 0, v[12:13]
	v_mad_u64_u32 v[18:19], s[2:3], v1, s39, 0
	v_add_co_u32_e32 v9, vcc, v12, v18
	v_mad_u64_u32 v[16:17], s[2:3], v1, s20, 0
	s_nop 0
	v_addc_co_u32_e32 v12, vcc, v13, v19, vcc
	v_mov_b32_e32 v13, v8
	s_nop 0
	v_addc_co_u32_e32 v17, vcc, 0, v17, vcc
	v_lshl_add_u64 v[8:9], v[12:13], 0, v[16:17]
	v_mul_lo_u32 v11, s41, v8
	v_mul_lo_u32 v15, s40, v9
	v_mad_u64_u32 v[12:13], s[2:3], s40, v8, 0
	v_add3_u32 v11, v13, v15, v11
	v_sub_u32_e32 v13, v1, v11
	v_mov_b32_e32 v15, s41
	v_sub_co_u32_e32 v3, vcc, v3, v12
	v_lshl_add_u64 v[16:17], v[8:9], 0, 1
	s_nop 0
	v_subb_co_u32_e64 v12, s[2:3], v13, v15, vcc
	v_subrev_co_u32_e64 v13, s[2:3], s40, v3
	v_subb_co_u32_e32 v1, vcc, v1, v11, vcc
	s_nop 0
	v_subbrev_co_u32_e64 v12, s[2:3], 0, v12, s[2:3]
	v_cmp_le_u32_e64 s[2:3], s41, v12
	v_cmp_le_u32_e32 vcc, s41, v1
	s_nop 0
	v_cndmask_b32_e64 v15, 0, -1, s[2:3]
	v_cmp_le_u32_e64 s[2:3], s40, v13
	v_cndmask_b32_e64 v11, 0, -1, vcc
	v_cmp_le_u32_e32 vcc, s40, v3
	v_cndmask_b32_e64 v13, 0, -1, s[2:3]
	v_cmp_eq_u32_e64 s[2:3], s41, v12
	v_cndmask_b32_e64 v3, 0, -1, vcc
	v_cmp_eq_u32_e32 vcc, s41, v1
	v_cndmask_b32_e64 v15, v15, v13, s[2:3]
	v_lshl_add_u64 v[12:13], v[8:9], 0, 2
	v_cmp_ne_u32_e64 s[2:3], 0, v15
	v_cndmask_b32_e32 v1, v11, v3, vcc
	v_cmp_ne_u32_e32 vcc, 0, v1
	v_cndmask_b32_e64 v3, v16, v12, s[2:3]
	v_cndmask_b32_e64 v13, v17, v13, s[2:3]
	v_cndmask_b32_e32 v3, v8, v3, vcc
	v_xor_b32_e32 v8, s38, v10
	v_cndmask_b32_e32 v1, v9, v13, vcc
	v_xor_b32_e32 v3, v3, v8
	v_xor_b32_e32 v1, v1, v8
	v_sub_co_u32_e32 v10, vcc, v3, v8
	s_nop 1
	v_subb_co_u32_e32 v11, vcc, v1, v8, vcc
.LBB1_52:
	s_andn2_saveexec_b64 s[2:3], s[36:37]
	s_cbranch_execz .LBB1_54
; %bb.53:
	v_cvt_f32_u32_e32 v1, s12
	s_sub_i32 s20, 0, s12
	v_mov_b32_e32 v11, 0
	v_rcp_iflag_f32_e32 v1, v1
	s_nop 0
	v_mul_f32_e32 v1, 0x4f7ffffe, v1
	v_cvt_u32_f32_e32 v1, v1
	v_mul_lo_u32 v3, s20, v1
	v_mul_hi_u32 v3, v1, v3
	v_add_u32_e32 v1, v1, v3
	v_mul_hi_u32 v1, v4, v1
	v_mul_lo_u32 v3, v1, s12
	v_sub_u32_e32 v3, v4, v3
	v_add_u32_e32 v8, 1, v1
	v_subrev_u32_e32 v9, s12, v3
	v_cmp_le_u32_e32 vcc, s12, v3
	s_nop 1
	v_cndmask_b32_e32 v3, v3, v9, vcc
	v_cndmask_b32_e32 v1, v1, v8, vcc
	v_add_u32_e32 v8, 1, v1
	v_cmp_le_u32_e32 vcc, s12, v3
	s_nop 1
	v_cndmask_b32_e32 v10, v1, v8, vcc
.LBB1_54:
	s_or_b64 exec, exec, s[2:3]
	v_mul_lo_u32 v1, v7, s12
	v_mul_lo_u32 v3, v6, s13
	v_mad_u64_u32 v[8:9], s[2:3], v6, s12, 0
	v_add3_u32 v9, v9, v3, v1
	v_cmp_gt_i64_e32 vcc, v[8:9], v[4:5]
	v_mov_b64_e32 v[8:9], s[10:11]
	v_mad_u64_u32 v[8:9], s[2:3], v6, s12, v[8:9]
	v_add3_u32 v9, v1, v9, v3
	v_cmp_ge_i64_e64 s[2:3], v[4:5], v[8:9]
	s_or_b64 s[2:3], vcc, s[2:3]
	v_mov_b32_e32 v1, s15
	v_cndmask_b32_e64 v8, 0, 1, s[2:3]
	s_mov_b32 s2, 0
	v_mov_b32_e32 v9, s2
	v_cmp_gt_i64_e32 vcc, s[14:15], v[10:11]
	v_lshl_add_u64 v[12:13], v[6:7], 0, v[8:9]
	s_nop 0
	v_cndmask_b32_e32 v7, v1, v11, vcc
	v_mov_b32_e32 v1, s14
	v_cndmask_b32_e32 v6, v1, v10, vcc
	v_cmp_le_i64_e32 vcc, v[12:13], v[6:7]
	s_and_saveexec_b64 s[2:3], vcc
	s_cbranch_execz .LBB1_57
; %bb.55:
	global_load_ubyte v10, v2, s[4:5]
	v_mul_lo_u32 v11, s13, v12
	v_mul_lo_u32 v15, s12, v13
	v_mad_u64_u32 v[16:17], s[36:37], s12, v12, 0
	v_mov_b32_e32 v3, 0
	v_add3_u32 v11, v17, v15, v11
	v_sub_co_u32_e32 v15, vcc, v4, v16
	v_lshl_add_u64 v[8:9], s[4:5], 0, v[2:3]
	v_mov_b32_e32 v1, v3
	v_lshl_add_u64 v[2:3], v[12:13], 0, -1
	v_subb_co_u32_e32 v11, vcc, v5, v11, vcc
	v_mul_lo_u32 v16, s17, v12
	v_mul_lo_u32 v13, s16, v13
	v_mad_u64_u32 v[4:5], s[36:37], s16, v12, 0
	v_add3_u32 v5, v5, v13, v16
	v_mad_u64_u32 v[4:5], s[36:37], s18, v15, v[4:5]
	s_mul_i32 s20, s12, s19
	s_mul_hi_u32 s36, s12, s18
	v_mul_lo_u32 v11, s18, v11
	v_mul_lo_u32 v12, s19, v15
	s_add_i32 s20, s36, s20
	s_mul_i32 s36, s13, s18
	v_add3_u32 v5, v12, v5, v11
	s_add_i32 s20, s20, s36
	s_mul_i32 s36, s12, s18
	v_lshl_add_u64 v[0:1], v[4:5], 0, v[0:1]
	s_sub_u32 s36, s16, s36
	v_lshl_add_u64 v[0:1], s[6:7], 0, v[0:1]
	s_subb_u32 s37, s17, s20
	s_mov_b64 s[38:39], 0
.LBB1_56:                               ; =>This Inner Loop Header: Depth=1
	global_load_ubyte v4, v[0:1], off
	v_lshl_add_u64 v[2:3], v[2:3], 0, 1
	v_cmp_ge_i64_e32 vcc, v[2:3], v[6:7]
	v_lshl_add_u64 v[0:1], v[0:1], 0, s[36:37]
	s_or_b64 s[38:39], vcc, s[38:39]
	s_waitcnt vmcnt(0)
	v_add_u16_e32 v10, v4, v10
	global_store_byte v[8:9], v10, off
	s_andn2_b64 exec, exec, s[38:39]
	s_cbranch_execnz .LBB1_56
.LBB1_57:
	s_or_b64 exec, exec, s[2:3]
	v_add_u32_e32 v14, 0x100, v14
	s_or_b64 exec, exec, s[66:67]
	v_cmp_gt_i32_e32 vcc, s70, v14
	s_and_saveexec_b64 s[66:67], vcc
	s_cbranch_execz .LBB1_3
.LBB1_58:
	s_and_b64 vcc, exec, s[0:1]
	s_cbranch_vccnz .LBB1_64
; %bb.59:
	v_mov_b32_e32 v4, 0
	s_andn2_b64 vcc, exec, s[64:65]
	v_mov_b32_e32 v0, 0
	v_mov_b32_e32 v2, 0
	s_cbranch_vccnz .LBB1_68
; %bb.60:
	s_add_i32 s71, s69, 1
	s_cmp_eq_u32 s68, 2
	s_cbranch_scc1 .LBB1_65
; %bb.61:
	s_and_b32 s20, s71, 28
	v_mov_b32_e32 v2, 0
	s_mov_b32 s72, 0
	s_mov_b64 s[2:3], s[62:63]
	v_mov_b32_e32 v6, v14
	v_mov_b32_e32 v0, 0
	;; [unrolled: 1-line block ×3, first 2 shown]
.LBB1_62:                               ; =>This Inner Loop Header: Depth=1
	s_load_dwordx8 s[36:43], s[2:3], 0x0
	s_load_dwordx4 s[52:55], s[2:3], 0x20
	s_load_dwordx4 s[56:59], s[2:3], 0xe0
	s_load_dwordx8 s[44:51], s[2:3], 0xc0
	s_add_i32 s72, s72, 4
	s_waitcnt lgkmcnt(0)
	v_mul_hi_u32 v1, s37, v6
	v_add_u32_e32 v1, v6, v1
	v_lshrrev_b32_e32 v1, s38, v1
	v_mul_hi_u32 v5, s40, v1
	v_add_u32_e32 v5, v1, v5
	v_lshrrev_b32_e32 v5, s41, v5
	v_mul_lo_u32 v3, v1, s36
	v_mul_lo_u32 v8, v5, s39
	v_mul_hi_u32 v9, s43, v5
	v_sub_u32_e32 v3, v6, v3
	v_sub_u32_e32 v1, v1, v8
	v_add_u32_e32 v8, v5, v9
	v_mul_lo_u32 v6, v3, s44
	v_mul_lo_u32 v7, v3, s46
	;; [unrolled: 1-line block ×6, first 2 shown]
	v_lshrrev_b32_e32 v8, s52, v8
	v_add3_u32 v0, v3, v0, v1
	v_add3_u32 v1, v7, v4, v10
	v_mul_hi_u32 v4, s54, v8
	v_add_u32_e32 v4, v8, v4
	v_add3_u32 v2, v6, v2, v9
	v_lshrrev_b32_e32 v6, s55, v4
	v_mul_lo_u32 v3, v8, s42
	v_mul_lo_u32 v4, v6, s53
	s_add_u32 s2, s2, 48
	v_sub_u32_e32 v3, v5, v3
	v_sub_u32_e32 v4, v8, v4
	s_addc_u32 s3, s3, 0
	v_mul_lo_u32 v5, v3, s50
	v_mul_lo_u32 v7, v3, s51
	;; [unrolled: 1-line block ×6, first 2 shown]
	s_cmp_eq_u32 s20, s72
	v_add3_u32 v2, v5, v2, v8
	v_add3_u32 v4, v3, v1, v4
	;; [unrolled: 1-line block ×3, first 2 shown]
	s_cbranch_scc0 .LBB1_62
; %bb.63:
	v_mov_b32_e32 v1, v4
	s_and_b32 s36, s71, 3
	s_cmp_eq_u32 s36, 0
	s_cbranch_scc0 .LBB1_66
	s_branch .LBB1_68
.LBB1_64:
                                        ; implicit-def: $vgpr4
                                        ; implicit-def: $vgpr0
                                        ; implicit-def: $vgpr2
	s_branch .LBB1_69
.LBB1_65:
	v_mov_b32_e32 v0, 0
	s_mov_b32 s20, 0
	v_mov_b32_e32 v1, v0
                                        ; implicit-def: $vgpr4
	v_mov_b32_e32 v6, v14
	v_mov_b32_e32 v2, v0
	s_and_b32 s36, s71, 3
	s_cmp_eq_u32 s36, 0
	s_cbranch_scc1 .LBB1_68
.LBB1_66:
	s_mul_i32 s2, s20, 12
	s_add_u32 s2, s27, s2
	s_addc_u32 s3, s33, 0
	s_add_u32 s2, s2, 4
	s_addc_u32 s3, s3, 0
.LBB1_67:                               ; =>This Inner Loop Header: Depth=1
	s_load_dwordx2 s[38:39], s[2:3], 0x0
	s_load_dword s20, s[2:3], 0x8
	s_load_dwordx2 s[40:41], s[2:3], 0xc0
	s_load_dword s37, s[2:3], 0xc8
	v_mov_b32_e32 v4, v1
	s_waitcnt lgkmcnt(0)
	v_mul_hi_u32 v1, s39, v6
	v_add_u32_e32 v1, v6, v1
	v_lshrrev_b32_e32 v1, s20, v1
	v_mul_lo_u32 v3, v1, s38
	s_add_u32 s2, s2, 12
	v_sub_u32_e32 v7, v6, v3
	s_addc_u32 s3, s3, 0
	s_add_i32 s36, s36, -1
	v_mov_b32_e32 v6, v1
	v_mad_u64_u32 v[4:5], s[38:39], v7, s37, v[4:5]
	v_mad_u64_u32 v[0:1], s[38:39], v7, s41, v[0:1]
	s_cmp_lg_u32 s36, 0
	v_mad_u64_u32 v[2:3], s[38:39], v7, s40, v[2:3]
	v_mov_b32_e32 v1, v4
	s_cbranch_scc1 .LBB1_67
.LBB1_68:
	s_cbranch_execnz .LBB1_71
.LBB1_69:
	v_mul_hi_u32 v0, s22, v14
	v_add_u32_e32 v0, v14, v0
	v_lshrrev_b32_e32 v1, s23, v0
	v_mul_lo_u32 v0, v1, s21
	v_sub_u32_e32 v0, v14, v0
	v_mul_lo_u32 v2, v0, s28
	v_mul_lo_u32 v4, v0, s30
	s_andn2_b64 vcc, exec, s[60:61]
	v_mul_lo_u32 v0, v0, s29
	s_cbranch_vccnz .LBB1_71
; %bb.70:
	v_mul_hi_u32 v3, s25, v1
	v_add_u32_e32 v3, v1, v3
	v_lshrrev_b32_e32 v3, s26, v3
	v_mul_lo_u32 v3, v3, s24
	v_sub_u32_e32 v5, v1, v3
	v_mad_u64_u32 v[2:3], s[2:3], v5, s31, v[2:3]
	v_mad_u64_u32 v[0:1], s[2:3], v5, s34, v[0:1]
	;; [unrolled: 1-line block ×3, first 2 shown]
.LBB1_71:
	global_load_dwordx2 v[4:5], v4, s[8:9]
	v_mov_b64_e32 v[6:7], 0
	s_waitcnt vmcnt(0)
	v_cmp_lt_i64_e32 vcc, s[10:11], v[4:5]
	s_and_saveexec_b64 s[36:37], vcc
	s_cbranch_execz .LBB1_77
; %bb.72:
	v_mov_b32_e32 v1, s11
	v_subrev_co_u32_e32 v8, vcc, s10, v4
	v_mov_b32_e32 v10, 0
	s_nop 0
	v_subb_co_u32_e32 v9, vcc, v5, v1, vcc
	v_or_b32_e32 v11, s13, v9
	v_cmp_ne_u64_e32 vcc, 0, v[10:11]
                                        ; implicit-def: $vgpr6_vgpr7
	s_and_saveexec_b64 s[2:3], vcc
	s_xor_b64 s[38:39], exec, s[2:3]
	s_cbranch_execz .LBB1_74
; %bb.73:
	s_ashr_i32 s40, s13, 31
	s_add_u32 s2, s12, s40
	s_mov_b32 s41, s40
	s_addc_u32 s3, s13, s40
	s_xor_b64 s[42:43], s[2:3], s[40:41]
	v_cvt_f32_u32_e32 v1, s42
	v_cvt_f32_u32_e32 v3, s43
	s_sub_u32 s20, 0, s42
	s_subb_u32 s41, 0, s43
	v_ashrrev_i32_e32 v6, 31, v9
	v_fmamk_f32 v1, v3, 0x4f800000, v1
	v_rcp_f32_e32 v1, v1
	v_mov_b32_e32 v7, v6
	v_lshl_add_u64 v[8:9], v[8:9], 0, v[6:7]
	v_mov_b32_e32 v13, v10
	v_mul_f32_e32 v1, 0x5f7ffffc, v1
	v_mul_f32_e32 v3, 0x2f800000, v1
	v_trunc_f32_e32 v3, v3
	v_fmamk_f32 v1, v3, 0xcf800000, v1
	v_cvt_u32_f32_e32 v3, v3
	v_cvt_u32_f32_e32 v1, v1
	v_readfirstlane_b32 s44, v3
	v_readfirstlane_b32 s2, v1
	s_mul_i32 s3, s20, s44
	s_mul_hi_u32 s46, s20, s2
	s_mul_i32 s45, s41, s2
	s_add_i32 s3, s46, s3
	s_add_i32 s3, s3, s45
	s_mul_i32 s47, s20, s2
	s_mul_i32 s46, s2, s3
	s_mul_hi_u32 s48, s2, s47
	s_mul_hi_u32 s45, s2, s3
	s_add_u32 s46, s48, s46
	s_addc_u32 s45, 0, s45
	s_mul_hi_u32 s49, s44, s47
	s_mul_i32 s47, s44, s47
	s_add_u32 s46, s46, s47
	s_mul_hi_u32 s48, s44, s3
	s_addc_u32 s45, s45, s49
	s_addc_u32 s46, s48, 0
	s_mul_i32 s3, s44, s3
	s_add_u32 s3, s45, s3
	s_addc_u32 s45, 0, s46
	s_add_u32 s46, s2, s3
	s_cselect_b64 s[2:3], -1, 0
	s_cmp_lg_u64 s[2:3], 0
	s_addc_u32 s44, s44, s45
	s_mul_i32 s2, s20, s44
	s_mul_hi_u32 s3, s20, s46
	s_add_i32 s2, s3, s2
	s_mul_i32 s41, s41, s46
	s_add_i32 s2, s2, s41
	s_mul_i32 s20, s20, s46
	s_mul_hi_u32 s41, s44, s20
	s_mul_i32 s45, s44, s20
	s_mul_i32 s48, s46, s2
	s_mul_hi_u32 s20, s46, s20
	s_mul_hi_u32 s47, s46, s2
	s_add_u32 s20, s20, s48
	s_addc_u32 s47, 0, s47
	s_add_u32 s20, s20, s45
	s_mul_hi_u32 s3, s44, s2
	s_addc_u32 s20, s47, s41
	s_addc_u32 s3, s3, 0
	s_mul_i32 s2, s44, s2
	s_add_u32 s2, s20, s2
	s_addc_u32 s20, 0, s3
	s_add_u32 s41, s46, s2
	s_cselect_b64 s[2:3], -1, 0
	s_cmp_lg_u64 s[2:3], 0
	s_addc_u32 s20, s44, s20
	v_xor_b32_e32 v3, v8, v6
	v_xor_b32_e32 v1, v9, v6
	v_mad_u64_u32 v[8:9], s[2:3], v3, s20, 0
	v_mul_hi_u32 v12, v3, s41
	v_lshl_add_u64 v[8:9], v[12:13], 0, v[8:9]
	v_mad_u64_u32 v[16:17], s[2:3], v1, s41, 0
	v_add_co_u32_e32 v7, vcc, v8, v16
	v_mad_u64_u32 v[12:13], s[2:3], v1, s20, 0
	s_nop 0
	v_addc_co_u32_e32 v8, vcc, v9, v17, vcc
	v_mov_b32_e32 v9, v10
	s_nop 0
	v_addc_co_u32_e32 v13, vcc, 0, v13, vcc
	v_lshl_add_u64 v[8:9], v[8:9], 0, v[12:13]
	v_mul_lo_u32 v7, s43, v8
	v_mul_lo_u32 v12, s42, v9
	v_mad_u64_u32 v[10:11], s[2:3], s42, v8, 0
	v_add3_u32 v7, v11, v12, v7
	v_sub_u32_e32 v11, v1, v7
	v_mov_b32_e32 v12, s43
	v_sub_co_u32_e32 v3, vcc, v3, v10
	s_nop 1
	v_subb_co_u32_e64 v10, s[2:3], v11, v12, vcc
	v_subrev_co_u32_e64 v11, s[2:3], s42, v3
	v_subb_co_u32_e32 v1, vcc, v1, v7, vcc
	s_nop 0
	v_subbrev_co_u32_e64 v10, s[2:3], 0, v10, s[2:3]
	v_cmp_le_u32_e64 s[2:3], s43, v10
	v_cmp_le_u32_e32 vcc, s43, v1
	s_nop 0
	v_cndmask_b32_e64 v12, 0, -1, s[2:3]
	v_cmp_le_u32_e64 s[2:3], s42, v11
	v_cndmask_b32_e64 v7, 0, -1, vcc
	v_cmp_le_u32_e32 vcc, s42, v3
	v_cndmask_b32_e64 v11, 0, -1, s[2:3]
	v_cmp_eq_u32_e64 s[2:3], s43, v10
	v_cndmask_b32_e64 v3, 0, -1, vcc
	v_cmp_eq_u32_e32 vcc, s43, v1
	v_cndmask_b32_e64 v15, v12, v11, s[2:3]
	v_lshl_add_u64 v[10:11], v[8:9], 0, 2
	v_lshl_add_u64 v[12:13], v[8:9], 0, 1
	v_cmp_ne_u32_e64 s[2:3], 0, v15
	v_cndmask_b32_e32 v1, v7, v3, vcc
	v_cmp_ne_u32_e32 vcc, 0, v1
	v_cndmask_b32_e64 v3, v12, v10, s[2:3]
	v_cndmask_b32_e64 v11, v13, v11, s[2:3]
	v_cndmask_b32_e32 v3, v8, v3, vcc
	v_xor_b32_e32 v7, s40, v6
	v_cndmask_b32_e32 v1, v9, v11, vcc
	v_xor_b32_e32 v3, v3, v7
	v_xor_b32_e32 v1, v1, v7
	v_sub_co_u32_e32 v6, vcc, v3, v7
                                        ; implicit-def: $vgpr8
	s_nop 1
	v_subb_co_u32_e32 v7, vcc, v1, v7, vcc
.LBB1_74:
	s_andn2_saveexec_b64 s[2:3], s[38:39]
	s_cbranch_execz .LBB1_76
; %bb.75:
	v_cvt_f32_u32_e32 v1, s12
	s_sub_i32 s20, 0, s12
	v_rcp_iflag_f32_e32 v1, v1
	s_nop 0
	v_mul_f32_e32 v1, 0x4f7ffffe, v1
	v_cvt_u32_f32_e32 v1, v1
	v_mul_lo_u32 v3, s20, v1
	v_mul_hi_u32 v3, v1, v3
	v_add_u32_e32 v1, v1, v3
	v_mul_hi_u32 v1, v8, v1
	v_mul_lo_u32 v3, v1, s12
	v_sub_u32_e32 v3, v8, v3
	v_add_u32_e32 v6, 1, v1
	v_subrev_u32_e32 v7, s12, v3
	v_cmp_le_u32_e32 vcc, s12, v3
	s_nop 1
	v_cndmask_b32_e32 v3, v3, v7, vcc
	v_cndmask_b32_e32 v1, v1, v6, vcc
	v_add_u32_e32 v6, 1, v1
	v_cmp_le_u32_e32 vcc, s12, v3
	v_mov_b32_e32 v7, 0
	s_nop 0
	v_cndmask_b32_e32 v6, v1, v6, vcc
.LBB1_76:
	s_or_b64 exec, exec, s[2:3]
.LBB1_77:
	s_or_b64 exec, exec, s[36:37]
	v_or_b32_e32 v9, s13, v5
	v_mov_b32_e32 v8, 0
	v_cmp_ne_u64_e32 vcc, 0, v[8:9]
                                        ; implicit-def: $vgpr10_vgpr11
	s_and_saveexec_b64 s[2:3], vcc
	s_xor_b64 s[36:37], exec, s[2:3]
	s_cbranch_execz .LBB1_79
; %bb.78:
	s_ashr_i32 s38, s13, 31
	s_add_u32 s2, s12, s38
	s_mov_b32 s39, s38
	s_addc_u32 s3, s13, s38
	s_xor_b64 s[40:41], s[2:3], s[38:39]
	v_cvt_f32_u32_e32 v1, s40
	v_cvt_f32_u32_e32 v3, s41
	s_sub_u32 s20, 0, s40
	s_subb_u32 s39, 0, s41
	v_ashrrev_i32_e32 v10, 31, v5
	v_fmamk_f32 v1, v3, 0x4f800000, v1
	v_rcp_f32_e32 v1, v1
	v_mov_b32_e32 v11, v10
	v_lshl_add_u64 v[12:13], v[4:5], 0, v[10:11]
	v_mov_b32_e32 v17, v8
	v_mul_f32_e32 v1, 0x5f7ffffc, v1
	v_mul_f32_e32 v3, 0x2f800000, v1
	v_trunc_f32_e32 v3, v3
	v_fmamk_f32 v1, v3, 0xcf800000, v1
	v_cvt_u32_f32_e32 v3, v3
	v_cvt_u32_f32_e32 v1, v1
	v_readfirstlane_b32 s42, v3
	v_readfirstlane_b32 s2, v1
	s_mul_i32 s3, s20, s42
	s_mul_hi_u32 s44, s20, s2
	s_mul_i32 s43, s39, s2
	s_add_i32 s3, s44, s3
	s_add_i32 s3, s3, s43
	s_mul_i32 s45, s20, s2
	s_mul_i32 s44, s2, s3
	s_mul_hi_u32 s46, s2, s45
	s_mul_hi_u32 s43, s2, s3
	s_add_u32 s44, s46, s44
	s_addc_u32 s43, 0, s43
	s_mul_hi_u32 s47, s42, s45
	s_mul_i32 s45, s42, s45
	s_add_u32 s44, s44, s45
	s_mul_hi_u32 s46, s42, s3
	s_addc_u32 s43, s43, s47
	s_addc_u32 s44, s46, 0
	s_mul_i32 s3, s42, s3
	s_add_u32 s3, s43, s3
	s_addc_u32 s43, 0, s44
	s_add_u32 s44, s2, s3
	s_cselect_b64 s[2:3], -1, 0
	s_cmp_lg_u64 s[2:3], 0
	s_addc_u32 s42, s42, s43
	s_mul_i32 s2, s20, s42
	s_mul_hi_u32 s3, s20, s44
	s_add_i32 s2, s3, s2
	s_mul_i32 s39, s39, s44
	s_add_i32 s2, s2, s39
	s_mul_i32 s20, s20, s44
	s_mul_hi_u32 s39, s42, s20
	s_mul_i32 s43, s42, s20
	s_mul_i32 s46, s44, s2
	s_mul_hi_u32 s20, s44, s20
	s_mul_hi_u32 s45, s44, s2
	s_add_u32 s20, s20, s46
	s_addc_u32 s45, 0, s45
	s_add_u32 s20, s20, s43
	s_mul_hi_u32 s3, s42, s2
	s_addc_u32 s20, s45, s39
	s_addc_u32 s3, s3, 0
	s_mul_i32 s2, s42, s2
	s_add_u32 s2, s20, s2
	s_addc_u32 s20, 0, s3
	s_add_u32 s39, s44, s2
	s_cselect_b64 s[2:3], -1, 0
	s_cmp_lg_u64 s[2:3], 0
	s_addc_u32 s20, s42, s20
	v_xor_b32_e32 v3, v12, v10
	v_xor_b32_e32 v1, v13, v10
	v_mad_u64_u32 v[12:13], s[2:3], v3, s20, 0
	v_mul_hi_u32 v16, v3, s39
	v_lshl_add_u64 v[12:13], v[16:17], 0, v[12:13]
	v_mad_u64_u32 v[18:19], s[2:3], v1, s39, 0
	v_add_co_u32_e32 v9, vcc, v12, v18
	v_mad_u64_u32 v[16:17], s[2:3], v1, s20, 0
	s_nop 0
	v_addc_co_u32_e32 v12, vcc, v13, v19, vcc
	v_mov_b32_e32 v13, v8
	s_nop 0
	v_addc_co_u32_e32 v17, vcc, 0, v17, vcc
	v_lshl_add_u64 v[8:9], v[12:13], 0, v[16:17]
	v_mul_lo_u32 v11, s41, v8
	v_mul_lo_u32 v15, s40, v9
	v_mad_u64_u32 v[12:13], s[2:3], s40, v8, 0
	v_add3_u32 v11, v13, v15, v11
	v_sub_u32_e32 v13, v1, v11
	v_mov_b32_e32 v15, s41
	v_sub_co_u32_e32 v3, vcc, v3, v12
	v_lshl_add_u64 v[16:17], v[8:9], 0, 1
	s_nop 0
	v_subb_co_u32_e64 v12, s[2:3], v13, v15, vcc
	v_subrev_co_u32_e64 v13, s[2:3], s40, v3
	v_subb_co_u32_e32 v1, vcc, v1, v11, vcc
	s_nop 0
	v_subbrev_co_u32_e64 v12, s[2:3], 0, v12, s[2:3]
	v_cmp_le_u32_e64 s[2:3], s41, v12
	v_cmp_le_u32_e32 vcc, s41, v1
	s_nop 0
	v_cndmask_b32_e64 v15, 0, -1, s[2:3]
	v_cmp_le_u32_e64 s[2:3], s40, v13
	v_cndmask_b32_e64 v11, 0, -1, vcc
	v_cmp_le_u32_e32 vcc, s40, v3
	v_cndmask_b32_e64 v13, 0, -1, s[2:3]
	v_cmp_eq_u32_e64 s[2:3], s41, v12
	v_cndmask_b32_e64 v3, 0, -1, vcc
	v_cmp_eq_u32_e32 vcc, s41, v1
	v_cndmask_b32_e64 v15, v15, v13, s[2:3]
	v_lshl_add_u64 v[12:13], v[8:9], 0, 2
	v_cmp_ne_u32_e64 s[2:3], 0, v15
	v_cndmask_b32_e32 v1, v11, v3, vcc
	v_cmp_ne_u32_e32 vcc, 0, v1
	v_cndmask_b32_e64 v3, v16, v12, s[2:3]
	v_cndmask_b32_e64 v13, v17, v13, s[2:3]
	v_cndmask_b32_e32 v3, v8, v3, vcc
	v_xor_b32_e32 v8, s38, v10
	v_cndmask_b32_e32 v1, v9, v13, vcc
	v_xor_b32_e32 v3, v3, v8
	v_xor_b32_e32 v1, v1, v8
	v_sub_co_u32_e32 v10, vcc, v3, v8
	s_nop 1
	v_subb_co_u32_e32 v11, vcc, v1, v8, vcc
.LBB1_79:
	s_andn2_saveexec_b64 s[2:3], s[36:37]
	s_cbranch_execz .LBB1_81
; %bb.80:
	v_cvt_f32_u32_e32 v1, s12
	s_sub_i32 s20, 0, s12
	v_mov_b32_e32 v11, 0
	v_rcp_iflag_f32_e32 v1, v1
	s_nop 0
	v_mul_f32_e32 v1, 0x4f7ffffe, v1
	v_cvt_u32_f32_e32 v1, v1
	v_mul_lo_u32 v3, s20, v1
	v_mul_hi_u32 v3, v1, v3
	v_add_u32_e32 v1, v1, v3
	v_mul_hi_u32 v1, v4, v1
	v_mul_lo_u32 v3, v1, s12
	v_sub_u32_e32 v3, v4, v3
	v_add_u32_e32 v8, 1, v1
	v_subrev_u32_e32 v9, s12, v3
	v_cmp_le_u32_e32 vcc, s12, v3
	s_nop 1
	v_cndmask_b32_e32 v3, v3, v9, vcc
	v_cndmask_b32_e32 v1, v1, v8, vcc
	v_add_u32_e32 v8, 1, v1
	v_cmp_le_u32_e32 vcc, s12, v3
	s_nop 1
	v_cndmask_b32_e32 v10, v1, v8, vcc
.LBB1_81:
	s_or_b64 exec, exec, s[2:3]
	v_mul_lo_u32 v1, v7, s12
	v_mul_lo_u32 v3, v6, s13
	v_mad_u64_u32 v[8:9], s[2:3], v6, s12, 0
	v_add3_u32 v9, v9, v3, v1
	v_cmp_gt_i64_e32 vcc, v[8:9], v[4:5]
	v_mov_b64_e32 v[8:9], s[10:11]
	v_mad_u64_u32 v[8:9], s[2:3], v6, s12, v[8:9]
	v_add3_u32 v9, v1, v9, v3
	v_cmp_ge_i64_e64 s[2:3], v[4:5], v[8:9]
	s_or_b64 s[2:3], vcc, s[2:3]
	v_mov_b32_e32 v1, s15
	v_cndmask_b32_e64 v8, 0, 1, s[2:3]
	s_mov_b32 s2, 0
	v_mov_b32_e32 v9, s2
	v_cmp_gt_i64_e32 vcc, s[14:15], v[10:11]
	v_lshl_add_u64 v[12:13], v[6:7], 0, v[8:9]
	s_nop 0
	v_cndmask_b32_e32 v7, v1, v11, vcc
	v_mov_b32_e32 v1, s14
	v_cndmask_b32_e32 v6, v1, v10, vcc
	v_cmp_le_i64_e32 vcc, v[12:13], v[6:7]
	s_and_saveexec_b64 s[2:3], vcc
	s_cbranch_execz .LBB1_84
; %bb.82:
	global_load_ubyte v10, v2, s[4:5]
	v_mul_lo_u32 v11, s13, v12
	v_mul_lo_u32 v15, s12, v13
	v_mad_u64_u32 v[16:17], s[36:37], s12, v12, 0
	v_mov_b32_e32 v3, 0
	v_add3_u32 v11, v17, v15, v11
	v_sub_co_u32_e32 v15, vcc, v4, v16
	v_lshl_add_u64 v[8:9], s[4:5], 0, v[2:3]
	v_mov_b32_e32 v1, v3
	v_lshl_add_u64 v[2:3], v[12:13], 0, -1
	v_subb_co_u32_e32 v11, vcc, v5, v11, vcc
	v_mul_lo_u32 v16, s17, v12
	v_mul_lo_u32 v13, s16, v13
	v_mad_u64_u32 v[4:5], s[36:37], s16, v12, 0
	v_add3_u32 v5, v5, v13, v16
	v_mad_u64_u32 v[4:5], s[36:37], s18, v15, v[4:5]
	s_mul_i32 s20, s12, s19
	s_mul_hi_u32 s36, s12, s18
	v_mul_lo_u32 v11, s18, v11
	v_mul_lo_u32 v12, s19, v15
	s_add_i32 s20, s36, s20
	s_mul_i32 s36, s13, s18
	v_add3_u32 v5, v12, v5, v11
	s_add_i32 s20, s20, s36
	s_mul_i32 s36, s12, s18
	v_lshl_add_u64 v[0:1], v[4:5], 0, v[0:1]
	s_sub_u32 s36, s16, s36
	v_lshl_add_u64 v[0:1], s[6:7], 0, v[0:1]
	s_subb_u32 s37, s17, s20
	s_mov_b64 s[38:39], 0
.LBB1_83:                               ; =>This Inner Loop Header: Depth=1
	global_load_ubyte v4, v[0:1], off
	v_lshl_add_u64 v[2:3], v[2:3], 0, 1
	v_cmp_ge_i64_e32 vcc, v[2:3], v[6:7]
	v_lshl_add_u64 v[0:1], v[0:1], 0, s[36:37]
	s_or_b64 s[38:39], vcc, s[38:39]
	s_waitcnt vmcnt(0)
	v_add_u16_e32 v10, v4, v10
	global_store_byte v[8:9], v10, off
	s_andn2_b64 exec, exec, s[38:39]
	s_cbranch_execnz .LBB1_83
.LBB1_84:
	s_or_b64 exec, exec, s[2:3]
	v_add_u32_e32 v14, 0x100, v14
	s_or_b64 exec, exec, s[66:67]
	v_cmp_gt_i32_e32 vcc, s70, v14
	s_and_saveexec_b64 s[2:3], vcc
	s_cbranch_execz .LBB1_111
.LBB1_85:
	s_and_b64 vcc, exec, s[0:1]
	s_cbranch_vccnz .LBB1_91
; %bb.86:
	v_mov_b32_e32 v4, 0
	s_andn2_b64 vcc, exec, s[64:65]
	v_mov_b32_e32 v0, 0
	v_mov_b32_e32 v2, 0
	s_cbranch_vccnz .LBB1_95
; %bb.87:
	s_add_i32 s69, s69, 1
	s_cmp_eq_u32 s68, 2
	s_cbranch_scc1 .LBB1_92
; %bb.88:
	s_and_b32 s20, s69, 28
	v_mov_b32_e32 v2, 0
	s_mov_b32 s56, 0
	v_mov_b32_e32 v6, v14
	v_mov_b32_e32 v0, 0
	;; [unrolled: 1-line block ×3, first 2 shown]
.LBB1_89:                               ; =>This Inner Loop Header: Depth=1
	s_load_dwordx8 s[36:43], s[62:63], 0x0
	s_load_dwordx4 s[0:3], s[62:63], 0x20
	s_load_dwordx4 s[52:55], s[62:63], 0xe0
	s_load_dwordx8 s[44:51], s[62:63], 0xc0
	s_add_i32 s56, s56, 4
	s_waitcnt lgkmcnt(0)
	v_mul_hi_u32 v1, s37, v6
	v_add_u32_e32 v1, v6, v1
	v_lshrrev_b32_e32 v1, s38, v1
	v_mul_hi_u32 v5, s40, v1
	v_add_u32_e32 v5, v1, v5
	v_lshrrev_b32_e32 v5, s41, v5
	v_mul_lo_u32 v3, v1, s36
	v_mul_lo_u32 v8, v5, s39
	v_mul_hi_u32 v9, s43, v5
	v_sub_u32_e32 v3, v6, v3
	v_sub_u32_e32 v1, v1, v8
	v_add_u32_e32 v8, v5, v9
	v_mul_lo_u32 v6, v3, s44
	v_mul_lo_u32 v7, v3, s46
	v_mul_lo_u32 v3, v3, s45
	v_mul_lo_u32 v9, v1, s47
	v_mul_lo_u32 v10, v1, s49
	v_mul_lo_u32 v1, v1, s48
	v_lshrrev_b32_e32 v8, s0, v8
	v_add3_u32 v0, v3, v0, v1
	v_add3_u32 v1, v7, v4, v10
	v_mul_hi_u32 v4, s2, v8
	v_add_u32_e32 v4, v8, v4
	v_add3_u32 v2, v6, v2, v9
	v_lshrrev_b32_e32 v6, s3, v4
	v_mul_lo_u32 v3, v8, s42
	v_mul_lo_u32 v4, v6, s1
	s_add_u32 s62, s62, 48
	v_sub_u32_e32 v3, v5, v3
	v_sub_u32_e32 v4, v8, v4
	s_addc_u32 s63, s63, 0
	v_mul_lo_u32 v5, v3, s50
	v_mul_lo_u32 v7, v3, s51
	;; [unrolled: 1-line block ×6, first 2 shown]
	s_cmp_eq_u32 s20, s56
	v_add3_u32 v2, v5, v2, v8
	v_add3_u32 v4, v3, v1, v4
	;; [unrolled: 1-line block ×3, first 2 shown]
	s_cbranch_scc0 .LBB1_89
; %bb.90:
	v_mov_b32_e32 v1, v4
	s_and_b32 s2, s69, 3
	s_cmp_eq_u32 s2, 0
	s_cbranch_scc0 .LBB1_93
	s_branch .LBB1_95
.LBB1_91:
                                        ; implicit-def: $vgpr4
                                        ; implicit-def: $vgpr0
                                        ; implicit-def: $vgpr2
	s_branch .LBB1_96
.LBB1_92:
	v_mov_b32_e32 v0, 0
	s_mov_b32 s20, 0
	v_mov_b32_e32 v1, v0
                                        ; implicit-def: $vgpr4
	v_mov_b32_e32 v6, v14
	v_mov_b32_e32 v2, v0
	s_and_b32 s2, s69, 3
	s_cmp_eq_u32 s2, 0
	s_cbranch_scc1 .LBB1_95
.LBB1_93:
	s_mul_i32 s0, s20, 12
	s_add_u32 s0, s27, s0
	s_addc_u32 s1, s33, 0
	s_add_u32 s0, s0, 4
	s_addc_u32 s1, s1, 0
.LBB1_94:                               ; =>This Inner Loop Header: Depth=1
	s_load_dwordx2 s[36:37], s[0:1], 0x0
	s_load_dword s3, s[0:1], 0x8
	s_load_dwordx2 s[38:39], s[0:1], 0xc0
	s_load_dword s20, s[0:1], 0xc8
	v_mov_b32_e32 v4, v1
	s_waitcnt lgkmcnt(0)
	v_mul_hi_u32 v1, s37, v6
	v_add_u32_e32 v1, v6, v1
	v_lshrrev_b32_e32 v1, s3, v1
	v_mul_lo_u32 v3, v1, s36
	s_add_u32 s0, s0, 12
	v_sub_u32_e32 v7, v6, v3
	s_addc_u32 s1, s1, 0
	s_add_i32 s2, s2, -1
	v_mov_b32_e32 v6, v1
	v_mad_u64_u32 v[4:5], s[36:37], v7, s20, v[4:5]
	v_mad_u64_u32 v[0:1], s[36:37], v7, s39, v[0:1]
	s_cmp_lg_u32 s2, 0
	v_mad_u64_u32 v[2:3], s[36:37], v7, s38, v[2:3]
	v_mov_b32_e32 v1, v4
	s_cbranch_scc1 .LBB1_94
.LBB1_95:
	s_cbranch_execnz .LBB1_98
.LBB1_96:
	v_mul_hi_u32 v0, s22, v14
	v_add_u32_e32 v0, v14, v0
	v_lshrrev_b32_e32 v1, s23, v0
	v_mul_lo_u32 v0, v1, s21
	v_sub_u32_e32 v0, v14, v0
	v_mul_lo_u32 v2, v0, s28
	v_mul_lo_u32 v4, v0, s30
	s_andn2_b64 vcc, exec, s[60:61]
	v_mul_lo_u32 v0, v0, s29
	s_cbranch_vccnz .LBB1_98
; %bb.97:
	v_mul_hi_u32 v3, s25, v1
	v_add_u32_e32 v3, v1, v3
	v_lshrrev_b32_e32 v3, s26, v3
	v_mul_lo_u32 v3, v3, s24
	v_sub_u32_e32 v5, v1, v3
	v_mad_u64_u32 v[2:3], s[0:1], v5, s31, v[2:3]
	v_mad_u64_u32 v[0:1], s[0:1], v5, s34, v[0:1]
	v_mad_u64_u32 v[4:5], s[0:1], v5, s35, v[4:5]
.LBB1_98:
	global_load_dwordx2 v[4:5], v4, s[8:9]
	v_mov_b64_e32 v[6:7], 0
	s_waitcnt vmcnt(0)
	v_cmp_lt_i64_e32 vcc, s[10:11], v[4:5]
	s_and_saveexec_b64 s[2:3], vcc
	s_cbranch_execz .LBB1_104
; %bb.99:
	v_mov_b32_e32 v1, s11
	v_subrev_co_u32_e32 v8, vcc, s10, v4
	v_mov_b32_e32 v10, 0
	s_nop 0
	v_subb_co_u32_e32 v9, vcc, v5, v1, vcc
	v_or_b32_e32 v11, s13, v9
	v_cmp_ne_u64_e32 vcc, 0, v[10:11]
                                        ; implicit-def: $vgpr6_vgpr7
	s_and_saveexec_b64 s[0:1], vcc
	s_xor_b64 s[8:9], exec, s[0:1]
	s_cbranch_execz .LBB1_101
; %bb.100:
	s_ashr_i32 s20, s13, 31
	s_add_u32 s0, s12, s20
	s_mov_b32 s21, s20
	s_addc_u32 s1, s13, s20
	s_xor_b64 s[22:23], s[0:1], s[20:21]
	v_cvt_f32_u32_e32 v1, s22
	v_cvt_f32_u32_e32 v3, s23
	s_sub_u32 s21, 0, s22
	s_subb_u32 s24, 0, s23
	v_ashrrev_i32_e32 v6, 31, v9
	v_fmamk_f32 v1, v3, 0x4f800000, v1
	v_rcp_f32_e32 v1, v1
	v_mov_b32_e32 v7, v6
	v_lshl_add_u64 v[8:9], v[8:9], 0, v[6:7]
	v_mov_b32_e32 v13, v10
	v_mul_f32_e32 v1, 0x5f7ffffc, v1
	v_mul_f32_e32 v3, 0x2f800000, v1
	v_trunc_f32_e32 v3, v3
	v_fmamk_f32 v1, v3, 0xcf800000, v1
	v_cvt_u32_f32_e32 v3, v3
	v_cvt_u32_f32_e32 v1, v1
	v_readfirstlane_b32 s25, v3
	v_readfirstlane_b32 s0, v1
	s_mul_i32 s1, s21, s25
	s_mul_hi_u32 s27, s21, s0
	s_mul_i32 s26, s24, s0
	s_add_i32 s1, s27, s1
	s_add_i32 s1, s1, s26
	s_mul_i32 s28, s21, s0
	s_mul_i32 s27, s0, s1
	s_mul_hi_u32 s29, s0, s28
	s_mul_hi_u32 s26, s0, s1
	s_add_u32 s27, s29, s27
	s_addc_u32 s26, 0, s26
	s_mul_hi_u32 s30, s25, s28
	s_mul_i32 s28, s25, s28
	s_add_u32 s27, s27, s28
	s_mul_hi_u32 s29, s25, s1
	s_addc_u32 s26, s26, s30
	s_addc_u32 s27, s29, 0
	s_mul_i32 s1, s25, s1
	s_add_u32 s1, s26, s1
	s_addc_u32 s26, 0, s27
	s_add_u32 s27, s0, s1
	s_cselect_b64 s[0:1], -1, 0
	s_cmp_lg_u64 s[0:1], 0
	s_addc_u32 s25, s25, s26
	s_mul_i32 s0, s21, s25
	s_mul_hi_u32 s1, s21, s27
	s_add_i32 s0, s1, s0
	s_mul_i32 s24, s24, s27
	s_add_i32 s0, s0, s24
	s_mul_i32 s21, s21, s27
	s_mul_hi_u32 s24, s25, s21
	s_mul_i32 s26, s25, s21
	s_mul_i32 s29, s27, s0
	s_mul_hi_u32 s21, s27, s21
	s_mul_hi_u32 s28, s27, s0
	s_add_u32 s21, s21, s29
	s_addc_u32 s28, 0, s28
	s_add_u32 s21, s21, s26
	s_mul_hi_u32 s1, s25, s0
	s_addc_u32 s21, s28, s24
	s_addc_u32 s1, s1, 0
	s_mul_i32 s0, s25, s0
	s_add_u32 s0, s21, s0
	s_addc_u32 s21, 0, s1
	s_add_u32 s24, s27, s0
	s_cselect_b64 s[0:1], -1, 0
	s_cmp_lg_u64 s[0:1], 0
	s_addc_u32 s21, s25, s21
	v_xor_b32_e32 v3, v8, v6
	v_xor_b32_e32 v1, v9, v6
	v_mad_u64_u32 v[8:9], s[0:1], v3, s21, 0
	v_mul_hi_u32 v12, v3, s24
	v_lshl_add_u64 v[8:9], v[12:13], 0, v[8:9]
	v_mad_u64_u32 v[14:15], s[0:1], v1, s24, 0
	v_add_co_u32_e32 v7, vcc, v8, v14
	v_mad_u64_u32 v[12:13], s[0:1], v1, s21, 0
	s_nop 0
	v_addc_co_u32_e32 v8, vcc, v9, v15, vcc
	v_mov_b32_e32 v9, v10
	s_nop 0
	v_addc_co_u32_e32 v13, vcc, 0, v13, vcc
	v_lshl_add_u64 v[8:9], v[8:9], 0, v[12:13]
	v_mul_lo_u32 v7, s23, v8
	v_mul_lo_u32 v12, s22, v9
	v_mad_u64_u32 v[10:11], s[0:1], s22, v8, 0
	v_add3_u32 v7, v11, v12, v7
	v_sub_u32_e32 v11, v1, v7
	v_mov_b32_e32 v12, s23
	v_sub_co_u32_e32 v3, vcc, v3, v10
	s_nop 1
	v_subb_co_u32_e64 v10, s[0:1], v11, v12, vcc
	v_subrev_co_u32_e64 v11, s[0:1], s22, v3
	v_subb_co_u32_e32 v1, vcc, v1, v7, vcc
	s_nop 0
	v_subbrev_co_u32_e64 v10, s[0:1], 0, v10, s[0:1]
	v_cmp_le_u32_e64 s[0:1], s23, v10
	v_cmp_le_u32_e32 vcc, s23, v1
	s_nop 0
	v_cndmask_b32_e64 v12, 0, -1, s[0:1]
	v_cmp_le_u32_e64 s[0:1], s22, v11
	v_cndmask_b32_e64 v7, 0, -1, vcc
	v_cmp_le_u32_e32 vcc, s22, v3
	v_cndmask_b32_e64 v11, 0, -1, s[0:1]
	v_cmp_eq_u32_e64 s[0:1], s23, v10
	v_cndmask_b32_e64 v3, 0, -1, vcc
	v_cmp_eq_u32_e32 vcc, s23, v1
	v_cndmask_b32_e64 v14, v12, v11, s[0:1]
	v_lshl_add_u64 v[10:11], v[8:9], 0, 2
	v_lshl_add_u64 v[12:13], v[8:9], 0, 1
	v_cmp_ne_u32_e64 s[0:1], 0, v14
	v_cndmask_b32_e32 v1, v7, v3, vcc
	v_cmp_ne_u32_e32 vcc, 0, v1
	v_cndmask_b32_e64 v3, v12, v10, s[0:1]
	v_cndmask_b32_e64 v11, v13, v11, s[0:1]
	v_cndmask_b32_e32 v3, v8, v3, vcc
	v_xor_b32_e32 v7, s20, v6
	v_cndmask_b32_e32 v1, v9, v11, vcc
	v_xor_b32_e32 v3, v3, v7
	v_xor_b32_e32 v1, v1, v7
	v_sub_co_u32_e32 v6, vcc, v3, v7
                                        ; implicit-def: $vgpr8
	s_nop 1
	v_subb_co_u32_e32 v7, vcc, v1, v7, vcc
.LBB1_101:
	s_andn2_saveexec_b64 s[0:1], s[8:9]
	s_cbranch_execz .LBB1_103
; %bb.102:
	v_cvt_f32_u32_e32 v1, s12
	s_sub_i32 s8, 0, s12
	v_rcp_iflag_f32_e32 v1, v1
	s_nop 0
	v_mul_f32_e32 v1, 0x4f7ffffe, v1
	v_cvt_u32_f32_e32 v1, v1
	v_mul_lo_u32 v3, s8, v1
	v_mul_hi_u32 v3, v1, v3
	v_add_u32_e32 v1, v1, v3
	v_mul_hi_u32 v1, v8, v1
	v_mul_lo_u32 v3, v1, s12
	v_sub_u32_e32 v3, v8, v3
	v_add_u32_e32 v6, 1, v1
	v_subrev_u32_e32 v7, s12, v3
	v_cmp_le_u32_e32 vcc, s12, v3
	s_nop 1
	v_cndmask_b32_e32 v3, v3, v7, vcc
	v_cndmask_b32_e32 v1, v1, v6, vcc
	v_add_u32_e32 v6, 1, v1
	v_cmp_le_u32_e32 vcc, s12, v3
	v_mov_b32_e32 v7, 0
	s_nop 0
	v_cndmask_b32_e32 v6, v1, v6, vcc
.LBB1_103:
	s_or_b64 exec, exec, s[0:1]
.LBB1_104:
	s_or_b64 exec, exec, s[2:3]
	v_or_b32_e32 v9, s13, v5
	v_mov_b32_e32 v8, 0
	v_cmp_ne_u64_e32 vcc, 0, v[8:9]
                                        ; implicit-def: $vgpr10_vgpr11
	s_and_saveexec_b64 s[0:1], vcc
	s_xor_b64 s[2:3], exec, s[0:1]
	s_cbranch_execz .LBB1_106
; %bb.105:
	s_ashr_i32 s8, s13, 31
	s_add_u32 s0, s12, s8
	s_mov_b32 s9, s8
	s_addc_u32 s1, s13, s8
	s_xor_b64 s[20:21], s[0:1], s[8:9]
	v_cvt_f32_u32_e32 v1, s20
	v_cvt_f32_u32_e32 v3, s21
	s_sub_u32 s9, 0, s20
	s_subb_u32 s22, 0, s21
	v_ashrrev_i32_e32 v10, 31, v5
	v_fmamk_f32 v1, v3, 0x4f800000, v1
	v_rcp_f32_e32 v1, v1
	v_mov_b32_e32 v11, v10
	v_lshl_add_u64 v[12:13], v[4:5], 0, v[10:11]
	v_mov_b32_e32 v15, v8
	v_mul_f32_e32 v1, 0x5f7ffffc, v1
	v_mul_f32_e32 v3, 0x2f800000, v1
	v_trunc_f32_e32 v3, v3
	v_fmamk_f32 v1, v3, 0xcf800000, v1
	v_cvt_u32_f32_e32 v3, v3
	v_cvt_u32_f32_e32 v1, v1
	v_readfirstlane_b32 s23, v3
	v_readfirstlane_b32 s0, v1
	s_mul_i32 s1, s9, s23
	s_mul_hi_u32 s25, s9, s0
	s_mul_i32 s24, s22, s0
	s_add_i32 s1, s25, s1
	s_add_i32 s1, s1, s24
	s_mul_i32 s26, s9, s0
	s_mul_i32 s25, s0, s1
	s_mul_hi_u32 s27, s0, s26
	s_mul_hi_u32 s24, s0, s1
	s_add_u32 s25, s27, s25
	s_addc_u32 s24, 0, s24
	s_mul_hi_u32 s28, s23, s26
	s_mul_i32 s26, s23, s26
	s_add_u32 s25, s25, s26
	s_mul_hi_u32 s27, s23, s1
	s_addc_u32 s24, s24, s28
	s_addc_u32 s25, s27, 0
	s_mul_i32 s1, s23, s1
	s_add_u32 s1, s24, s1
	s_addc_u32 s24, 0, s25
	s_add_u32 s25, s0, s1
	s_cselect_b64 s[0:1], -1, 0
	s_cmp_lg_u64 s[0:1], 0
	s_addc_u32 s23, s23, s24
	s_mul_i32 s0, s9, s23
	s_mul_hi_u32 s1, s9, s25
	s_add_i32 s0, s1, s0
	s_mul_i32 s22, s22, s25
	s_add_i32 s0, s0, s22
	s_mul_i32 s9, s9, s25
	s_mul_hi_u32 s22, s23, s9
	s_mul_i32 s24, s23, s9
	s_mul_i32 s27, s25, s0
	s_mul_hi_u32 s9, s25, s9
	s_mul_hi_u32 s26, s25, s0
	s_add_u32 s9, s9, s27
	s_addc_u32 s26, 0, s26
	s_add_u32 s9, s9, s24
	s_mul_hi_u32 s1, s23, s0
	s_addc_u32 s9, s26, s22
	s_addc_u32 s1, s1, 0
	s_mul_i32 s0, s23, s0
	s_add_u32 s0, s9, s0
	s_addc_u32 s9, 0, s1
	s_add_u32 s22, s25, s0
	s_cselect_b64 s[0:1], -1, 0
	s_cmp_lg_u64 s[0:1], 0
	s_addc_u32 s9, s23, s9
	v_xor_b32_e32 v3, v12, v10
	v_xor_b32_e32 v1, v13, v10
	v_mad_u64_u32 v[12:13], s[0:1], v3, s9, 0
	v_mul_hi_u32 v14, v3, s22
	v_lshl_add_u64 v[12:13], v[14:15], 0, v[12:13]
	v_mad_u64_u32 v[16:17], s[0:1], v1, s22, 0
	v_add_co_u32_e32 v9, vcc, v12, v16
	v_mad_u64_u32 v[14:15], s[0:1], v1, s9, 0
	s_nop 0
	v_addc_co_u32_e32 v12, vcc, v13, v17, vcc
	v_mov_b32_e32 v13, v8
	s_nop 0
	v_addc_co_u32_e32 v15, vcc, 0, v15, vcc
	v_lshl_add_u64 v[8:9], v[12:13], 0, v[14:15]
	v_mul_lo_u32 v11, s21, v8
	v_mul_lo_u32 v14, s20, v9
	v_mad_u64_u32 v[12:13], s[0:1], s20, v8, 0
	v_add3_u32 v11, v13, v14, v11
	v_sub_u32_e32 v13, v1, v11
	v_mov_b32_e32 v14, s21
	v_sub_co_u32_e32 v3, vcc, v3, v12
	s_nop 1
	v_subb_co_u32_e64 v12, s[0:1], v13, v14, vcc
	v_subrev_co_u32_e64 v13, s[0:1], s20, v3
	v_subb_co_u32_e32 v1, vcc, v1, v11, vcc
	s_nop 0
	v_subbrev_co_u32_e64 v12, s[0:1], 0, v12, s[0:1]
	v_cmp_le_u32_e64 s[0:1], s21, v12
	v_cmp_le_u32_e32 vcc, s21, v1
	s_nop 0
	v_cndmask_b32_e64 v14, 0, -1, s[0:1]
	v_cmp_le_u32_e64 s[0:1], s20, v13
	v_cndmask_b32_e64 v11, 0, -1, vcc
	v_cmp_le_u32_e32 vcc, s20, v3
	v_cndmask_b32_e64 v13, 0, -1, s[0:1]
	v_cmp_eq_u32_e64 s[0:1], s21, v12
	v_cndmask_b32_e64 v3, 0, -1, vcc
	v_cmp_eq_u32_e32 vcc, s21, v1
	v_cndmask_b32_e64 v16, v14, v13, s[0:1]
	v_lshl_add_u64 v[12:13], v[8:9], 0, 2
	v_lshl_add_u64 v[14:15], v[8:9], 0, 1
	v_cmp_ne_u32_e64 s[0:1], 0, v16
	v_cndmask_b32_e32 v1, v11, v3, vcc
	v_cmp_ne_u32_e32 vcc, 0, v1
	v_cndmask_b32_e64 v3, v14, v12, s[0:1]
	v_cndmask_b32_e64 v13, v15, v13, s[0:1]
	v_cndmask_b32_e32 v3, v8, v3, vcc
	v_xor_b32_e32 v8, s8, v10
	v_cndmask_b32_e32 v1, v9, v13, vcc
	v_xor_b32_e32 v3, v3, v8
	v_xor_b32_e32 v1, v1, v8
	v_sub_co_u32_e32 v10, vcc, v3, v8
	s_nop 1
	v_subb_co_u32_e32 v11, vcc, v1, v8, vcc
.LBB1_106:
	s_andn2_saveexec_b64 s[0:1], s[2:3]
	s_cbranch_execz .LBB1_108
; %bb.107:
	v_cvt_f32_u32_e32 v1, s12
	s_sub_i32 s2, 0, s12
	v_mov_b32_e32 v11, 0
	v_rcp_iflag_f32_e32 v1, v1
	s_nop 0
	v_mul_f32_e32 v1, 0x4f7ffffe, v1
	v_cvt_u32_f32_e32 v1, v1
	v_mul_lo_u32 v3, s2, v1
	v_mul_hi_u32 v3, v1, v3
	v_add_u32_e32 v1, v1, v3
	v_mul_hi_u32 v1, v4, v1
	v_mul_lo_u32 v3, v1, s12
	v_sub_u32_e32 v3, v4, v3
	v_add_u32_e32 v8, 1, v1
	v_subrev_u32_e32 v9, s12, v3
	v_cmp_le_u32_e32 vcc, s12, v3
	s_nop 1
	v_cndmask_b32_e32 v3, v3, v9, vcc
	v_cndmask_b32_e32 v1, v1, v8, vcc
	v_add_u32_e32 v8, 1, v1
	v_cmp_le_u32_e32 vcc, s12, v3
	s_nop 1
	v_cndmask_b32_e32 v10, v1, v8, vcc
.LBB1_108:
	s_or_b64 exec, exec, s[0:1]
	v_mul_lo_u32 v1, v7, s12
	v_mul_lo_u32 v3, v6, s13
	v_mad_u64_u32 v[8:9], s[0:1], v6, s12, 0
	v_add3_u32 v9, v9, v3, v1
	v_cmp_gt_i64_e32 vcc, v[8:9], v[4:5]
	v_mov_b64_e32 v[8:9], s[10:11]
	v_mad_u64_u32 v[8:9], s[0:1], v6, s12, v[8:9]
	v_add3_u32 v9, v1, v9, v3
	v_cmp_ge_i64_e64 s[0:1], v[4:5], v[8:9]
	s_or_b64 s[0:1], vcc, s[0:1]
	v_mov_b32_e32 v1, s15
	v_cndmask_b32_e64 v8, 0, 1, s[0:1]
	s_mov_b32 s0, 0
	v_mov_b32_e32 v9, s0
	v_cmp_gt_i64_e32 vcc, s[14:15], v[10:11]
	v_lshl_add_u64 v[12:13], v[6:7], 0, v[8:9]
	s_nop 0
	v_cndmask_b32_e32 v7, v1, v11, vcc
	v_mov_b32_e32 v1, s14
	v_cndmask_b32_e32 v6, v1, v10, vcc
	v_cmp_le_i64_e32 vcc, v[12:13], v[6:7]
	s_and_b64 exec, exec, vcc
	s_cbranch_execz .LBB1_111
; %bb.109:
	global_load_ubyte v10, v2, s[4:5]
	v_mul_lo_u32 v11, s13, v12
	v_mul_lo_u32 v16, s12, v13
	v_mad_u64_u32 v[14:15], s[0:1], s12, v12, 0
	v_mov_b32_e32 v3, 0
	v_add3_u32 v11, v15, v16, v11
	v_sub_co_u32_e32 v14, vcc, v4, v14
	v_lshl_add_u64 v[8:9], s[4:5], 0, v[2:3]
	v_mov_b32_e32 v1, v3
	v_lshl_add_u64 v[2:3], v[12:13], 0, -1
	v_subb_co_u32_e32 v11, vcc, v5, v11, vcc
	v_mul_lo_u32 v15, s17, v12
	v_mul_lo_u32 v13, s16, v13
	v_mad_u64_u32 v[4:5], s[0:1], s16, v12, 0
	v_add3_u32 v5, v5, v13, v15
	v_mad_u64_u32 v[4:5], s[0:1], s18, v14, v[4:5]
	s_mul_i32 s0, s12, s19
	s_mul_hi_u32 s1, s12, s18
	v_mul_lo_u32 v11, s18, v11
	v_mul_lo_u32 v12, s19, v14
	s_add_i32 s0, s1, s0
	s_mul_i32 s1, s13, s18
	v_add3_u32 v5, v12, v5, v11
	s_add_i32 s1, s0, s1
	s_mul_i32 s0, s12, s18
	v_lshl_add_u64 v[0:1], v[4:5], 0, v[0:1]
	s_sub_u32 s0, s16, s0
	v_lshl_add_u64 v[0:1], s[6:7], 0, v[0:1]
	s_subb_u32 s1, s17, s1
	s_mov_b64 s[2:3], 0
.LBB1_110:                              ; =>This Inner Loop Header: Depth=1
	global_load_ubyte v4, v[0:1], off
	v_lshl_add_u64 v[2:3], v[2:3], 0, 1
	v_cmp_ge_i64_e32 vcc, v[2:3], v[6:7]
	v_lshl_add_u64 v[0:1], v[0:1], 0, s[0:1]
	s_or_b64 s[2:3], vcc, s[2:3]
	s_waitcnt vmcnt(0)
	v_add_u16_e32 v10, v4, v10
	global_store_byte v[8:9], v10, off
	s_andn2_b64 exec, exec, s[2:3]
	s_cbranch_execnz .LBB1_110
.LBB1_111:
	s_endpgm
	.section	.rodata,"a",@progbits
	.p2align	6, 0x0
	.amdhsa_kernel _ZN2at6native12_GLOBAL__N_135_unfold_backward_elementwise_kernelILi256ELi4EZNS1_32_unfold_backward_internal_kernelIaEEvRNS_14TensorIteratorEllllllEUliE_EEviT1_
		.amdhsa_group_segment_fixed_size 0
		.amdhsa_private_segment_fixed_size 0
		.amdhsa_kernarg_size 464
		.amdhsa_user_sgpr_count 2
		.amdhsa_user_sgpr_dispatch_ptr 0
		.amdhsa_user_sgpr_queue_ptr 0
		.amdhsa_user_sgpr_kernarg_segment_ptr 1
		.amdhsa_user_sgpr_dispatch_id 0
		.amdhsa_user_sgpr_kernarg_preload_length 0
		.amdhsa_user_sgpr_kernarg_preload_offset 0
		.amdhsa_user_sgpr_private_segment_size 0
		.amdhsa_uses_dynamic_stack 0
		.amdhsa_enable_private_segment 0
		.amdhsa_system_sgpr_workgroup_id_x 1
		.amdhsa_system_sgpr_workgroup_id_y 0
		.amdhsa_system_sgpr_workgroup_id_z 0
		.amdhsa_system_sgpr_workgroup_info 0
		.amdhsa_system_vgpr_workitem_id 0
		.amdhsa_next_free_vgpr 20
		.amdhsa_next_free_sgpr 73
		.amdhsa_accum_offset 20
		.amdhsa_reserve_vcc 1
		.amdhsa_float_round_mode_32 0
		.amdhsa_float_round_mode_16_64 0
		.amdhsa_float_denorm_mode_32 3
		.amdhsa_float_denorm_mode_16_64 3
		.amdhsa_dx10_clamp 1
		.amdhsa_ieee_mode 1
		.amdhsa_fp16_overflow 0
		.amdhsa_tg_split 0
		.amdhsa_exception_fp_ieee_invalid_op 0
		.amdhsa_exception_fp_denorm_src 0
		.amdhsa_exception_fp_ieee_div_zero 0
		.amdhsa_exception_fp_ieee_overflow 0
		.amdhsa_exception_fp_ieee_underflow 0
		.amdhsa_exception_fp_ieee_inexact 0
		.amdhsa_exception_int_div_zero 0
	.end_amdhsa_kernel
	.section	.text._ZN2at6native12_GLOBAL__N_135_unfold_backward_elementwise_kernelILi256ELi4EZNS1_32_unfold_backward_internal_kernelIaEEvRNS_14TensorIteratorEllllllEUliE_EEviT1_,"axG",@progbits,_ZN2at6native12_GLOBAL__N_135_unfold_backward_elementwise_kernelILi256ELi4EZNS1_32_unfold_backward_internal_kernelIaEEvRNS_14TensorIteratorEllllllEUliE_EEviT1_,comdat
.Lfunc_end1:
	.size	_ZN2at6native12_GLOBAL__N_135_unfold_backward_elementwise_kernelILi256ELi4EZNS1_32_unfold_backward_internal_kernelIaEEvRNS_14TensorIteratorEllllllEUliE_EEviT1_, .Lfunc_end1-_ZN2at6native12_GLOBAL__N_135_unfold_backward_elementwise_kernelILi256ELi4EZNS1_32_unfold_backward_internal_kernelIaEEvRNS_14TensorIteratorEllllllEUliE_EEviT1_
                                        ; -- End function
	.set _ZN2at6native12_GLOBAL__N_135_unfold_backward_elementwise_kernelILi256ELi4EZNS1_32_unfold_backward_internal_kernelIaEEvRNS_14TensorIteratorEllllllEUliE_EEviT1_.num_vgpr, 20
	.set _ZN2at6native12_GLOBAL__N_135_unfold_backward_elementwise_kernelILi256ELi4EZNS1_32_unfold_backward_internal_kernelIaEEvRNS_14TensorIteratorEllllllEUliE_EEviT1_.num_agpr, 0
	.set _ZN2at6native12_GLOBAL__N_135_unfold_backward_elementwise_kernelILi256ELi4EZNS1_32_unfold_backward_internal_kernelIaEEvRNS_14TensorIteratorEllllllEUliE_EEviT1_.numbered_sgpr, 73
	.set _ZN2at6native12_GLOBAL__N_135_unfold_backward_elementwise_kernelILi256ELi4EZNS1_32_unfold_backward_internal_kernelIaEEvRNS_14TensorIteratorEllllllEUliE_EEviT1_.num_named_barrier, 0
	.set _ZN2at6native12_GLOBAL__N_135_unfold_backward_elementwise_kernelILi256ELi4EZNS1_32_unfold_backward_internal_kernelIaEEvRNS_14TensorIteratorEllllllEUliE_EEviT1_.private_seg_size, 0
	.set _ZN2at6native12_GLOBAL__N_135_unfold_backward_elementwise_kernelILi256ELi4EZNS1_32_unfold_backward_internal_kernelIaEEvRNS_14TensorIteratorEllllllEUliE_EEviT1_.uses_vcc, 1
	.set _ZN2at6native12_GLOBAL__N_135_unfold_backward_elementwise_kernelILi256ELi4EZNS1_32_unfold_backward_internal_kernelIaEEvRNS_14TensorIteratorEllllllEUliE_EEviT1_.uses_flat_scratch, 0
	.set _ZN2at6native12_GLOBAL__N_135_unfold_backward_elementwise_kernelILi256ELi4EZNS1_32_unfold_backward_internal_kernelIaEEvRNS_14TensorIteratorEllllllEUliE_EEviT1_.has_dyn_sized_stack, 0
	.set _ZN2at6native12_GLOBAL__N_135_unfold_backward_elementwise_kernelILi256ELi4EZNS1_32_unfold_backward_internal_kernelIaEEvRNS_14TensorIteratorEllllllEUliE_EEviT1_.has_recursion, 0
	.set _ZN2at6native12_GLOBAL__N_135_unfold_backward_elementwise_kernelILi256ELi4EZNS1_32_unfold_backward_internal_kernelIaEEvRNS_14TensorIteratorEllllllEUliE_EEviT1_.has_indirect_call, 0
	.section	.AMDGPU.csdata,"",@progbits
; Kernel info:
; codeLenInByte = 10916
; TotalNumSgprs: 79
; NumVgprs: 20
; NumAgprs: 0
; TotalNumVgprs: 20
; ScratchSize: 0
; MemoryBound: 0
; FloatMode: 240
; IeeeMode: 1
; LDSByteSize: 0 bytes/workgroup (compile time only)
; SGPRBlocks: 9
; VGPRBlocks: 2
; NumSGPRsForWavesPerEU: 79
; NumVGPRsForWavesPerEU: 20
; AccumOffset: 20
; Occupancy: 8
; WaveLimiterHint : 1
; COMPUTE_PGM_RSRC2:SCRATCH_EN: 0
; COMPUTE_PGM_RSRC2:USER_SGPR: 2
; COMPUTE_PGM_RSRC2:TRAP_HANDLER: 0
; COMPUTE_PGM_RSRC2:TGID_X_EN: 1
; COMPUTE_PGM_RSRC2:TGID_Y_EN: 0
; COMPUTE_PGM_RSRC2:TGID_Z_EN: 0
; COMPUTE_PGM_RSRC2:TIDIG_COMP_CNT: 0
; COMPUTE_PGM_RSRC3_GFX90A:ACCUM_OFFSET: 4
; COMPUTE_PGM_RSRC3_GFX90A:TG_SPLIT: 0
	.section	.text._ZN2at6native12_GLOBAL__N_135_unfold_backward_elementwise_kernelILi256ELi4EZNS1_32_unfold_backward_internal_kernelIiEEvRNS_14TensorIteratorEllllllEUliE_EEviT1_,"axG",@progbits,_ZN2at6native12_GLOBAL__N_135_unfold_backward_elementwise_kernelILi256ELi4EZNS1_32_unfold_backward_internal_kernelIiEEvRNS_14TensorIteratorEllllllEUliE_EEviT1_,comdat
	.globl	_ZN2at6native12_GLOBAL__N_135_unfold_backward_elementwise_kernelILi256ELi4EZNS1_32_unfold_backward_internal_kernelIiEEvRNS_14TensorIteratorEllllllEUliE_EEviT1_ ; -- Begin function _ZN2at6native12_GLOBAL__N_135_unfold_backward_elementwise_kernelILi256ELi4EZNS1_32_unfold_backward_internal_kernelIiEEvRNS_14TensorIteratorEllllllEUliE_EEviT1_
	.p2align	8
	.type	_ZN2at6native12_GLOBAL__N_135_unfold_backward_elementwise_kernelILi256ELi4EZNS1_32_unfold_backward_internal_kernelIiEEvRNS_14TensorIteratorEllllllEUliE_EEviT1_,@function
_ZN2at6native12_GLOBAL__N_135_unfold_backward_elementwise_kernelILi256ELi4EZNS1_32_unfold_backward_internal_kernelIiEEvRNS_14TensorIteratorEllllllEUliE_EEviT1_: ; @_ZN2at6native12_GLOBAL__N_135_unfold_backward_elementwise_kernelILi256ELi4EZNS1_32_unfold_backward_internal_kernelIiEEvRNS_14TensorIteratorEllllllEUliE_EEviT1_
; %bb.0:
	s_load_dword s70, s[0:1], 0x0
	s_load_dwordx8 s[20:27], s[0:1], 0x8
	v_lshl_or_b32 v14, s2, 10, v0
	s_waitcnt lgkmcnt(0)
	s_add_u32 s27, s0, 8
	s_load_dwordx16 s[4:19], s[0:1], 0x190
	s_load_dwordx4 s[28:31], s[0:1], 0xcc
	s_load_dwordx2 s[34:35], s[0:1], 0xdc
	s_addc_u32 s33, s1, 0
	v_sub_co_u32_e64 v0, s[2:3], s20, 1
	s_nop 0
	v_readfirstlane_b32 s68, v0
	s_xor_b64 s[64:65], s[2:3], -1
	s_or_b32 s62, s0, 12
	s_min_u32 s69, s68, 15
	s_mov_b32 s63, s1
	s_cmp_gt_u32 s20, 1
	v_cmp_lt_u32_e64 s[0:1], 1, v0
	s_cselect_b64 s[60:61], -1, 0
	s_waitcnt lgkmcnt(0)
	s_add_u32 s14, s14, -1
	v_cndmask_b32_e64 v0, 0, 1, s[0:1]
	s_mov_b64 s[2:3], -1
	s_addc_u32 s15, s15, -1
	v_cmp_gt_i32_e32 vcc, s70, v14
	v_cmp_ne_u32_e64 s[0:1], 1, v0
	s_and_saveexec_b64 s[66:67], vcc
	s_cbranch_execnz .LBB2_4
; %bb.1:
	s_or_b64 exec, exec, s[66:67]
	v_cmp_gt_i32_e32 vcc, s70, v14
	s_and_saveexec_b64 s[66:67], vcc
	s_cbranch_execnz .LBB2_31
.LBB2_2:
	s_or_b64 exec, exec, s[66:67]
	v_cmp_gt_i32_e32 vcc, s70, v14
	s_and_saveexec_b64 s[66:67], vcc
	s_cbranch_execnz .LBB2_58
.LBB2_3:
	s_or_b64 exec, exec, s[66:67]
	v_cmp_gt_i32_e32 vcc, s70, v14
	s_and_saveexec_b64 s[2:3], vcc
	s_cbranch_execnz .LBB2_85
	s_branch .LBB2_111
.LBB2_4:
	s_and_b64 vcc, exec, s[0:1]
                                        ; implicit-def: $vgpr4
                                        ; implicit-def: $vgpr0
                                        ; implicit-def: $vgpr2
	s_cbranch_vccnz .LBB2_14
; %bb.5:
	v_mov_b32_e32 v4, 0
	s_andn2_b64 vcc, exec, s[64:65]
	v_mov_b32_e32 v0, 0
	v_mov_b32_e32 v2, 0
	s_cbranch_vccnz .LBB2_13
; %bb.6:
	s_add_i32 s71, s69, 1
	s_cmp_eq_u32 s68, 2
	s_cbranch_scc1 .LBB2_10
; %bb.7:
	s_and_b32 s20, s71, 28
	v_mov_b32_e32 v2, 0
	s_mov_b32 s72, 0
	s_mov_b64 s[2:3], s[62:63]
	v_mov_b32_e32 v6, v14
	v_mov_b32_e32 v0, 0
	;; [unrolled: 1-line block ×3, first 2 shown]
.LBB2_8:                                ; =>This Inner Loop Header: Depth=1
	s_load_dwordx8 s[36:43], s[2:3], 0x0
	s_load_dwordx4 s[52:55], s[2:3], 0x20
	s_load_dwordx4 s[56:59], s[2:3], 0xe0
	s_load_dwordx8 s[44:51], s[2:3], 0xc0
	s_add_i32 s72, s72, 4
	s_waitcnt lgkmcnt(0)
	v_mul_hi_u32 v1, s37, v6
	v_add_u32_e32 v1, v6, v1
	v_lshrrev_b32_e32 v1, s38, v1
	v_mul_hi_u32 v5, s40, v1
	v_add_u32_e32 v5, v1, v5
	v_lshrrev_b32_e32 v5, s41, v5
	v_mul_lo_u32 v3, v1, s36
	v_mul_lo_u32 v8, v5, s39
	v_mul_hi_u32 v9, s43, v5
	v_sub_u32_e32 v3, v6, v3
	v_sub_u32_e32 v1, v1, v8
	v_add_u32_e32 v8, v5, v9
	v_mul_lo_u32 v6, v3, s44
	v_mul_lo_u32 v7, v3, s46
	;; [unrolled: 1-line block ×6, first 2 shown]
	v_lshrrev_b32_e32 v8, s52, v8
	v_add3_u32 v0, v3, v0, v1
	v_add3_u32 v1, v7, v4, v10
	v_mul_hi_u32 v4, s54, v8
	v_add_u32_e32 v4, v8, v4
	v_add3_u32 v2, v6, v2, v9
	v_lshrrev_b32_e32 v6, s55, v4
	v_mul_lo_u32 v3, v8, s42
	v_mul_lo_u32 v4, v6, s53
	s_add_u32 s2, s2, 48
	v_sub_u32_e32 v3, v5, v3
	v_sub_u32_e32 v4, v8, v4
	s_addc_u32 s3, s3, 0
	v_mul_lo_u32 v5, v3, s50
	v_mul_lo_u32 v7, v3, s51
	;; [unrolled: 1-line block ×6, first 2 shown]
	s_cmp_lg_u32 s20, s72
	v_add3_u32 v2, v5, v2, v8
	v_add3_u32 v4, v3, v1, v4
	;; [unrolled: 1-line block ×3, first 2 shown]
	s_cbranch_scc1 .LBB2_8
; %bb.9:
	v_mov_b32_e32 v1, v4
	s_and_b32 s36, s71, 3
	s_cmp_eq_u32 s36, 0
	s_cbranch_scc0 .LBB2_11
	s_branch .LBB2_13
.LBB2_10:
	v_mov_b32_e32 v0, 0
	s_mov_b32 s20, 0
	v_mov_b32_e32 v1, v0
                                        ; implicit-def: $vgpr4
	v_mov_b32_e32 v6, v14
	v_mov_b32_e32 v2, v0
	s_and_b32 s36, s71, 3
	s_cmp_eq_u32 s36, 0
	s_cbranch_scc1 .LBB2_13
.LBB2_11:
	s_mul_i32 s2, s20, 12
	s_add_u32 s2, s27, s2
	s_addc_u32 s3, s33, 0
	s_add_u32 s2, s2, 4
	s_addc_u32 s3, s3, 0
.LBB2_12:                               ; =>This Inner Loop Header: Depth=1
	s_load_dwordx2 s[38:39], s[2:3], 0x0
	s_load_dword s20, s[2:3], 0x8
	s_load_dwordx2 s[40:41], s[2:3], 0xc0
	s_load_dword s37, s[2:3], 0xc8
	v_mov_b32_e32 v4, v1
	s_waitcnt lgkmcnt(0)
	v_mul_hi_u32 v1, s39, v6
	v_add_u32_e32 v1, v6, v1
	v_lshrrev_b32_e32 v1, s20, v1
	v_mul_lo_u32 v3, v1, s38
	s_add_u32 s2, s2, 12
	v_sub_u32_e32 v7, v6, v3
	s_addc_u32 s3, s3, 0
	s_add_i32 s36, s36, -1
	v_mov_b32_e32 v6, v1
	v_mad_u64_u32 v[4:5], s[38:39], v7, s37, v[4:5]
	v_mad_u64_u32 v[0:1], s[38:39], v7, s41, v[0:1]
	s_cmp_lg_u32 s36, 0
	v_mad_u64_u32 v[2:3], s[38:39], v7, s40, v[2:3]
	v_mov_b32_e32 v1, v4
	s_cbranch_scc1 .LBB2_12
.LBB2_13:
	s_mov_b64 s[2:3], 0
.LBB2_14:
	s_andn2_b64 vcc, exec, s[2:3]
	s_cbranch_vccnz .LBB2_17
; %bb.15:
	v_mul_hi_u32 v0, s22, v14
	v_add_u32_e32 v0, v14, v0
	v_lshrrev_b32_e32 v1, s23, v0
	v_mul_lo_u32 v0, v1, s21
	v_sub_u32_e32 v0, v14, v0
	v_mul_lo_u32 v2, v0, s28
	v_mul_lo_u32 v4, v0, s30
	s_andn2_b64 vcc, exec, s[60:61]
	v_mul_lo_u32 v0, v0, s29
	s_cbranch_vccnz .LBB2_17
; %bb.16:
	v_mul_hi_u32 v3, s25, v1
	v_add_u32_e32 v3, v1, v3
	v_lshrrev_b32_e32 v3, s26, v3
	v_mul_lo_u32 v3, v3, s24
	v_sub_u32_e32 v5, v1, v3
	v_mad_u64_u32 v[2:3], s[2:3], v5, s31, v[2:3]
	v_mad_u64_u32 v[0:1], s[2:3], v5, s34, v[0:1]
	;; [unrolled: 1-line block ×3, first 2 shown]
.LBB2_17:
	global_load_dwordx2 v[4:5], v4, s[8:9]
	v_mov_b64_e32 v[6:7], 0
	s_waitcnt vmcnt(0)
	v_cmp_lt_i64_e32 vcc, s[10:11], v[4:5]
	s_and_saveexec_b64 s[36:37], vcc
	s_cbranch_execz .LBB2_23
; %bb.18:
	v_mov_b32_e32 v1, s11
	v_subrev_co_u32_e32 v8, vcc, s10, v4
	v_mov_b32_e32 v10, 0
	s_nop 0
	v_subb_co_u32_e32 v9, vcc, v5, v1, vcc
	v_or_b32_e32 v11, s13, v9
	v_cmp_ne_u64_e32 vcc, 0, v[10:11]
                                        ; implicit-def: $vgpr6_vgpr7
	s_and_saveexec_b64 s[2:3], vcc
	s_xor_b64 s[38:39], exec, s[2:3]
	s_cbranch_execz .LBB2_20
; %bb.19:
	s_ashr_i32 s40, s13, 31
	s_add_u32 s2, s12, s40
	s_mov_b32 s41, s40
	s_addc_u32 s3, s13, s40
	s_xor_b64 s[42:43], s[2:3], s[40:41]
	v_cvt_f32_u32_e32 v1, s42
	v_cvt_f32_u32_e32 v3, s43
	s_sub_u32 s20, 0, s42
	s_subb_u32 s41, 0, s43
	v_ashrrev_i32_e32 v6, 31, v9
	v_fmamk_f32 v1, v3, 0x4f800000, v1
	v_rcp_f32_e32 v1, v1
	v_mov_b32_e32 v7, v6
	v_lshl_add_u64 v[8:9], v[8:9], 0, v[6:7]
	v_mov_b32_e32 v13, v10
	v_mul_f32_e32 v1, 0x5f7ffffc, v1
	v_mul_f32_e32 v3, 0x2f800000, v1
	v_trunc_f32_e32 v3, v3
	v_fmamk_f32 v1, v3, 0xcf800000, v1
	v_cvt_u32_f32_e32 v3, v3
	v_cvt_u32_f32_e32 v1, v1
	v_readfirstlane_b32 s44, v3
	v_readfirstlane_b32 s2, v1
	s_mul_i32 s3, s20, s44
	s_mul_hi_u32 s46, s20, s2
	s_mul_i32 s45, s41, s2
	s_add_i32 s3, s46, s3
	s_add_i32 s3, s3, s45
	s_mul_i32 s47, s20, s2
	s_mul_i32 s46, s2, s3
	s_mul_hi_u32 s48, s2, s47
	s_mul_hi_u32 s45, s2, s3
	s_add_u32 s46, s48, s46
	s_addc_u32 s45, 0, s45
	s_mul_hi_u32 s49, s44, s47
	s_mul_i32 s47, s44, s47
	s_add_u32 s46, s46, s47
	s_mul_hi_u32 s48, s44, s3
	s_addc_u32 s45, s45, s49
	s_addc_u32 s46, s48, 0
	s_mul_i32 s3, s44, s3
	s_add_u32 s3, s45, s3
	s_addc_u32 s45, 0, s46
	s_add_u32 s46, s2, s3
	s_cselect_b64 s[2:3], -1, 0
	s_cmp_lg_u64 s[2:3], 0
	s_addc_u32 s44, s44, s45
	s_mul_i32 s2, s20, s44
	s_mul_hi_u32 s3, s20, s46
	s_add_i32 s2, s3, s2
	s_mul_i32 s41, s41, s46
	s_add_i32 s2, s2, s41
	s_mul_i32 s20, s20, s46
	s_mul_hi_u32 s41, s44, s20
	s_mul_i32 s45, s44, s20
	s_mul_i32 s48, s46, s2
	s_mul_hi_u32 s20, s46, s20
	s_mul_hi_u32 s47, s46, s2
	s_add_u32 s20, s20, s48
	s_addc_u32 s47, 0, s47
	s_add_u32 s20, s20, s45
	s_mul_hi_u32 s3, s44, s2
	s_addc_u32 s20, s47, s41
	s_addc_u32 s3, s3, 0
	s_mul_i32 s2, s44, s2
	s_add_u32 s2, s20, s2
	s_addc_u32 s20, 0, s3
	s_add_u32 s41, s46, s2
	s_cselect_b64 s[2:3], -1, 0
	s_cmp_lg_u64 s[2:3], 0
	s_addc_u32 s20, s44, s20
	v_xor_b32_e32 v3, v8, v6
	v_xor_b32_e32 v1, v9, v6
	v_mad_u64_u32 v[8:9], s[2:3], v3, s20, 0
	v_mul_hi_u32 v12, v3, s41
	v_lshl_add_u64 v[8:9], v[12:13], 0, v[8:9]
	v_mad_u64_u32 v[16:17], s[2:3], v1, s41, 0
	v_add_co_u32_e32 v7, vcc, v8, v16
	v_mad_u64_u32 v[12:13], s[2:3], v1, s20, 0
	s_nop 0
	v_addc_co_u32_e32 v8, vcc, v9, v17, vcc
	v_mov_b32_e32 v9, v10
	s_nop 0
	v_addc_co_u32_e32 v13, vcc, 0, v13, vcc
	v_lshl_add_u64 v[8:9], v[8:9], 0, v[12:13]
	v_mul_lo_u32 v7, s43, v8
	v_mul_lo_u32 v12, s42, v9
	v_mad_u64_u32 v[10:11], s[2:3], s42, v8, 0
	v_add3_u32 v7, v11, v12, v7
	v_sub_u32_e32 v11, v1, v7
	v_mov_b32_e32 v12, s43
	v_sub_co_u32_e32 v3, vcc, v3, v10
	s_nop 1
	v_subb_co_u32_e64 v10, s[2:3], v11, v12, vcc
	v_subrev_co_u32_e64 v11, s[2:3], s42, v3
	v_subb_co_u32_e32 v1, vcc, v1, v7, vcc
	s_nop 0
	v_subbrev_co_u32_e64 v10, s[2:3], 0, v10, s[2:3]
	v_cmp_le_u32_e64 s[2:3], s43, v10
	v_cmp_le_u32_e32 vcc, s43, v1
	s_nop 0
	v_cndmask_b32_e64 v12, 0, -1, s[2:3]
	v_cmp_le_u32_e64 s[2:3], s42, v11
	v_cndmask_b32_e64 v7, 0, -1, vcc
	v_cmp_le_u32_e32 vcc, s42, v3
	v_cndmask_b32_e64 v11, 0, -1, s[2:3]
	v_cmp_eq_u32_e64 s[2:3], s43, v10
	v_cndmask_b32_e64 v3, 0, -1, vcc
	v_cmp_eq_u32_e32 vcc, s43, v1
	v_cndmask_b32_e64 v15, v12, v11, s[2:3]
	v_lshl_add_u64 v[10:11], v[8:9], 0, 2
	v_lshl_add_u64 v[12:13], v[8:9], 0, 1
	v_cmp_ne_u32_e64 s[2:3], 0, v15
	v_cndmask_b32_e32 v1, v7, v3, vcc
	v_cmp_ne_u32_e32 vcc, 0, v1
	v_cndmask_b32_e64 v3, v12, v10, s[2:3]
	v_cndmask_b32_e64 v11, v13, v11, s[2:3]
	v_cndmask_b32_e32 v3, v8, v3, vcc
	v_xor_b32_e32 v7, s40, v6
	v_cndmask_b32_e32 v1, v9, v11, vcc
	v_xor_b32_e32 v3, v3, v7
	v_xor_b32_e32 v1, v1, v7
	v_sub_co_u32_e32 v6, vcc, v3, v7
                                        ; implicit-def: $vgpr8
	s_nop 1
	v_subb_co_u32_e32 v7, vcc, v1, v7, vcc
.LBB2_20:
	s_andn2_saveexec_b64 s[2:3], s[38:39]
	s_cbranch_execz .LBB2_22
; %bb.21:
	v_cvt_f32_u32_e32 v1, s12
	s_sub_i32 s20, 0, s12
	v_rcp_iflag_f32_e32 v1, v1
	s_nop 0
	v_mul_f32_e32 v1, 0x4f7ffffe, v1
	v_cvt_u32_f32_e32 v1, v1
	v_mul_lo_u32 v3, s20, v1
	v_mul_hi_u32 v3, v1, v3
	v_add_u32_e32 v1, v1, v3
	v_mul_hi_u32 v1, v8, v1
	v_mul_lo_u32 v3, v1, s12
	v_sub_u32_e32 v3, v8, v3
	v_add_u32_e32 v6, 1, v1
	v_subrev_u32_e32 v7, s12, v3
	v_cmp_le_u32_e32 vcc, s12, v3
	s_nop 1
	v_cndmask_b32_e32 v3, v3, v7, vcc
	v_cndmask_b32_e32 v1, v1, v6, vcc
	v_add_u32_e32 v6, 1, v1
	v_cmp_le_u32_e32 vcc, s12, v3
	v_mov_b32_e32 v7, 0
	s_nop 0
	v_cndmask_b32_e32 v6, v1, v6, vcc
.LBB2_22:
	s_or_b64 exec, exec, s[2:3]
.LBB2_23:
	s_or_b64 exec, exec, s[36:37]
	v_or_b32_e32 v9, s13, v5
	v_mov_b32_e32 v8, 0
	v_cmp_ne_u64_e32 vcc, 0, v[8:9]
                                        ; implicit-def: $vgpr10_vgpr11
	s_and_saveexec_b64 s[2:3], vcc
	s_xor_b64 s[36:37], exec, s[2:3]
	s_cbranch_execz .LBB2_25
; %bb.24:
	s_ashr_i32 s38, s13, 31
	s_add_u32 s2, s12, s38
	s_mov_b32 s39, s38
	s_addc_u32 s3, s13, s38
	s_xor_b64 s[40:41], s[2:3], s[38:39]
	v_cvt_f32_u32_e32 v1, s40
	v_cvt_f32_u32_e32 v3, s41
	s_sub_u32 s20, 0, s40
	s_subb_u32 s39, 0, s41
	v_ashrrev_i32_e32 v10, 31, v5
	v_fmamk_f32 v1, v3, 0x4f800000, v1
	v_rcp_f32_e32 v1, v1
	v_mov_b32_e32 v11, v10
	v_lshl_add_u64 v[12:13], v[4:5], 0, v[10:11]
	v_mov_b32_e32 v17, v8
	v_mul_f32_e32 v1, 0x5f7ffffc, v1
	v_mul_f32_e32 v3, 0x2f800000, v1
	v_trunc_f32_e32 v3, v3
	v_fmamk_f32 v1, v3, 0xcf800000, v1
	v_cvt_u32_f32_e32 v3, v3
	v_cvt_u32_f32_e32 v1, v1
	v_readfirstlane_b32 s42, v3
	v_readfirstlane_b32 s2, v1
	s_mul_i32 s3, s20, s42
	s_mul_hi_u32 s44, s20, s2
	s_mul_i32 s43, s39, s2
	s_add_i32 s3, s44, s3
	s_add_i32 s3, s3, s43
	s_mul_i32 s45, s20, s2
	s_mul_i32 s44, s2, s3
	s_mul_hi_u32 s46, s2, s45
	s_mul_hi_u32 s43, s2, s3
	s_add_u32 s44, s46, s44
	s_addc_u32 s43, 0, s43
	s_mul_hi_u32 s47, s42, s45
	s_mul_i32 s45, s42, s45
	s_add_u32 s44, s44, s45
	s_mul_hi_u32 s46, s42, s3
	s_addc_u32 s43, s43, s47
	s_addc_u32 s44, s46, 0
	s_mul_i32 s3, s42, s3
	s_add_u32 s3, s43, s3
	s_addc_u32 s43, 0, s44
	s_add_u32 s44, s2, s3
	s_cselect_b64 s[2:3], -1, 0
	s_cmp_lg_u64 s[2:3], 0
	s_addc_u32 s42, s42, s43
	s_mul_i32 s2, s20, s42
	s_mul_hi_u32 s3, s20, s44
	s_add_i32 s2, s3, s2
	s_mul_i32 s39, s39, s44
	s_add_i32 s2, s2, s39
	s_mul_i32 s20, s20, s44
	s_mul_hi_u32 s39, s42, s20
	s_mul_i32 s43, s42, s20
	s_mul_i32 s46, s44, s2
	s_mul_hi_u32 s20, s44, s20
	s_mul_hi_u32 s45, s44, s2
	s_add_u32 s20, s20, s46
	s_addc_u32 s45, 0, s45
	s_add_u32 s20, s20, s43
	s_mul_hi_u32 s3, s42, s2
	s_addc_u32 s20, s45, s39
	s_addc_u32 s3, s3, 0
	s_mul_i32 s2, s42, s2
	s_add_u32 s2, s20, s2
	s_addc_u32 s20, 0, s3
	s_add_u32 s39, s44, s2
	s_cselect_b64 s[2:3], -1, 0
	s_cmp_lg_u64 s[2:3], 0
	s_addc_u32 s20, s42, s20
	v_xor_b32_e32 v3, v12, v10
	v_xor_b32_e32 v1, v13, v10
	v_mad_u64_u32 v[12:13], s[2:3], v3, s20, 0
	v_mul_hi_u32 v16, v3, s39
	v_lshl_add_u64 v[12:13], v[16:17], 0, v[12:13]
	v_mad_u64_u32 v[18:19], s[2:3], v1, s39, 0
	v_add_co_u32_e32 v9, vcc, v12, v18
	v_mad_u64_u32 v[16:17], s[2:3], v1, s20, 0
	s_nop 0
	v_addc_co_u32_e32 v12, vcc, v13, v19, vcc
	v_mov_b32_e32 v13, v8
	s_nop 0
	v_addc_co_u32_e32 v17, vcc, 0, v17, vcc
	v_lshl_add_u64 v[8:9], v[12:13], 0, v[16:17]
	v_mul_lo_u32 v11, s41, v8
	v_mul_lo_u32 v15, s40, v9
	v_mad_u64_u32 v[12:13], s[2:3], s40, v8, 0
	v_add3_u32 v11, v13, v15, v11
	v_sub_u32_e32 v13, v1, v11
	v_mov_b32_e32 v15, s41
	v_sub_co_u32_e32 v3, vcc, v3, v12
	v_lshl_add_u64 v[16:17], v[8:9], 0, 1
	s_nop 0
	v_subb_co_u32_e64 v12, s[2:3], v13, v15, vcc
	v_subrev_co_u32_e64 v13, s[2:3], s40, v3
	v_subb_co_u32_e32 v1, vcc, v1, v11, vcc
	s_nop 0
	v_subbrev_co_u32_e64 v12, s[2:3], 0, v12, s[2:3]
	v_cmp_le_u32_e64 s[2:3], s41, v12
	v_cmp_le_u32_e32 vcc, s41, v1
	s_nop 0
	v_cndmask_b32_e64 v15, 0, -1, s[2:3]
	v_cmp_le_u32_e64 s[2:3], s40, v13
	v_cndmask_b32_e64 v11, 0, -1, vcc
	v_cmp_le_u32_e32 vcc, s40, v3
	v_cndmask_b32_e64 v13, 0, -1, s[2:3]
	v_cmp_eq_u32_e64 s[2:3], s41, v12
	v_cndmask_b32_e64 v3, 0, -1, vcc
	v_cmp_eq_u32_e32 vcc, s41, v1
	v_cndmask_b32_e64 v15, v15, v13, s[2:3]
	v_lshl_add_u64 v[12:13], v[8:9], 0, 2
	v_cmp_ne_u32_e64 s[2:3], 0, v15
	v_cndmask_b32_e32 v1, v11, v3, vcc
	v_cmp_ne_u32_e32 vcc, 0, v1
	v_cndmask_b32_e64 v3, v16, v12, s[2:3]
	v_cndmask_b32_e64 v13, v17, v13, s[2:3]
	v_cndmask_b32_e32 v3, v8, v3, vcc
	v_xor_b32_e32 v8, s38, v10
	v_cndmask_b32_e32 v1, v9, v13, vcc
	v_xor_b32_e32 v3, v3, v8
	v_xor_b32_e32 v1, v1, v8
	v_sub_co_u32_e32 v10, vcc, v3, v8
	s_nop 1
	v_subb_co_u32_e32 v11, vcc, v1, v8, vcc
.LBB2_25:
	s_andn2_saveexec_b64 s[2:3], s[36:37]
	s_cbranch_execz .LBB2_27
; %bb.26:
	v_cvt_f32_u32_e32 v1, s12
	s_sub_i32 s20, 0, s12
	v_mov_b32_e32 v11, 0
	v_rcp_iflag_f32_e32 v1, v1
	s_nop 0
	v_mul_f32_e32 v1, 0x4f7ffffe, v1
	v_cvt_u32_f32_e32 v1, v1
	v_mul_lo_u32 v3, s20, v1
	v_mul_hi_u32 v3, v1, v3
	v_add_u32_e32 v1, v1, v3
	v_mul_hi_u32 v1, v4, v1
	v_mul_lo_u32 v3, v1, s12
	v_sub_u32_e32 v3, v4, v3
	v_add_u32_e32 v8, 1, v1
	v_subrev_u32_e32 v9, s12, v3
	v_cmp_le_u32_e32 vcc, s12, v3
	s_nop 1
	v_cndmask_b32_e32 v3, v3, v9, vcc
	v_cndmask_b32_e32 v1, v1, v8, vcc
	v_add_u32_e32 v8, 1, v1
	v_cmp_le_u32_e32 vcc, s12, v3
	s_nop 1
	v_cndmask_b32_e32 v10, v1, v8, vcc
.LBB2_27:
	s_or_b64 exec, exec, s[2:3]
	v_mul_lo_u32 v1, v7, s12
	v_mul_lo_u32 v3, v6, s13
	v_mad_u64_u32 v[8:9], s[2:3], v6, s12, 0
	v_add3_u32 v9, v9, v3, v1
	v_cmp_gt_i64_e32 vcc, v[8:9], v[4:5]
	v_mov_b64_e32 v[8:9], s[10:11]
	v_mad_u64_u32 v[8:9], s[2:3], v6, s12, v[8:9]
	v_add3_u32 v9, v1, v9, v3
	v_cmp_ge_i64_e64 s[2:3], v[4:5], v[8:9]
	s_or_b64 s[2:3], vcc, s[2:3]
	v_mov_b32_e32 v1, s15
	v_cndmask_b32_e64 v8, 0, 1, s[2:3]
	s_mov_b32 s2, 0
	v_mov_b32_e32 v9, s2
	v_cmp_gt_i64_e32 vcc, s[14:15], v[10:11]
	v_lshl_add_u64 v[12:13], v[6:7], 0, v[8:9]
	s_nop 0
	v_cndmask_b32_e32 v7, v1, v11, vcc
	v_mov_b32_e32 v1, s14
	v_cndmask_b32_e32 v6, v1, v10, vcc
	v_cmp_le_i64_e32 vcc, v[12:13], v[6:7]
	s_and_saveexec_b64 s[2:3], vcc
	s_cbranch_execz .LBB2_30
; %bb.28:
	global_load_dword v10, v2, s[4:5]
	v_mul_lo_u32 v11, s13, v12
	v_mul_lo_u32 v15, s12, v13
	v_mad_u64_u32 v[16:17], s[36:37], s12, v12, 0
	v_add3_u32 v11, v17, v15, v11
	v_sub_co_u32_e32 v4, vcc, v4, v16
	v_mov_b32_e32 v3, 0
	s_nop 0
	v_subb_co_u32_e32 v5, vcc, v5, v11, vcc
	v_mul_lo_u32 v11, s19, v4
	v_mul_lo_u32 v15, s18, v5
	v_mad_u64_u32 v[4:5], s[36:37], s18, v4, 0
	v_lshl_add_u64 v[8:9], s[4:5], 0, v[2:3]
	v_mov_b32_e32 v1, v3
	v_lshl_add_u64 v[2:3], v[12:13], 0, -1
	v_add3_u32 v5, v5, v15, v11
	v_mul_lo_u32 v11, s17, v12
	v_mul_lo_u32 v15, s16, v13
	v_mad_u64_u32 v[12:13], s[36:37], s16, v12, 0
	s_mul_i32 s20, s12, s19
	s_mul_hi_u32 s38, s12, s18
	v_add3_u32 v13, v13, v15, v11
	s_add_i32 s20, s38, s20
	s_mul_i32 s38, s13, s18
	v_lshlrev_b64 v[12:13], 2, v[12:13]
	s_add_i32 s39, s20, s38
	s_mul_i32 s38, s12, s18
	v_lshl_add_u64 v[4:5], v[4:5], 2, v[12:13]
	s_lshl_b64 s[36:37], s[16:17], 2
	s_lshl_b64 s[38:39], s[38:39], 2
	v_lshl_add_u64 v[0:1], v[4:5], 0, v[0:1]
	s_sub_u32 s36, s36, s38
	v_lshl_add_u64 v[0:1], s[6:7], 0, v[0:1]
	s_subb_u32 s37, s37, s39
	s_mov_b64 s[38:39], 0
.LBB2_29:                               ; =>This Inner Loop Header: Depth=1
	global_load_dword v4, v[0:1], off
	v_lshl_add_u64 v[2:3], v[2:3], 0, 1
	v_cmp_ge_i64_e32 vcc, v[2:3], v[6:7]
	v_lshl_add_u64 v[0:1], v[0:1], 0, s[36:37]
	s_or_b64 s[38:39], vcc, s[38:39]
	s_waitcnt vmcnt(0)
	v_add_u32_e32 v10, v4, v10
	global_store_dword v[8:9], v10, off
	s_andn2_b64 exec, exec, s[38:39]
	s_cbranch_execnz .LBB2_29
.LBB2_30:
	s_or_b64 exec, exec, s[2:3]
	v_add_u32_e32 v14, 0x100, v14
	s_or_b64 exec, exec, s[66:67]
	v_cmp_gt_i32_e32 vcc, s70, v14
	s_and_saveexec_b64 s[66:67], vcc
	s_cbranch_execz .LBB2_2
.LBB2_31:
	s_and_b64 vcc, exec, s[0:1]
	s_cbranch_vccnz .LBB2_37
; %bb.32:
	v_mov_b32_e32 v4, 0
	s_andn2_b64 vcc, exec, s[64:65]
	v_mov_b32_e32 v0, 0
	v_mov_b32_e32 v2, 0
	s_cbranch_vccnz .LBB2_41
; %bb.33:
	s_add_i32 s71, s69, 1
	s_cmp_eq_u32 s68, 2
	s_cbranch_scc1 .LBB2_38
; %bb.34:
	s_and_b32 s20, s71, 28
	v_mov_b32_e32 v2, 0
	s_mov_b32 s72, 0
	s_mov_b64 s[2:3], s[62:63]
	v_mov_b32_e32 v6, v14
	v_mov_b32_e32 v0, 0
	v_mov_b32_e32 v4, 0
.LBB2_35:                               ; =>This Inner Loop Header: Depth=1
	s_load_dwordx8 s[36:43], s[2:3], 0x0
	s_load_dwordx4 s[52:55], s[2:3], 0x20
	s_load_dwordx4 s[56:59], s[2:3], 0xe0
	s_load_dwordx8 s[44:51], s[2:3], 0xc0
	s_add_i32 s72, s72, 4
	s_waitcnt lgkmcnt(0)
	v_mul_hi_u32 v1, s37, v6
	v_add_u32_e32 v1, v6, v1
	v_lshrrev_b32_e32 v1, s38, v1
	v_mul_hi_u32 v5, s40, v1
	v_add_u32_e32 v5, v1, v5
	v_lshrrev_b32_e32 v5, s41, v5
	v_mul_lo_u32 v3, v1, s36
	v_mul_lo_u32 v8, v5, s39
	v_mul_hi_u32 v9, s43, v5
	v_sub_u32_e32 v3, v6, v3
	v_sub_u32_e32 v1, v1, v8
	v_add_u32_e32 v8, v5, v9
	v_mul_lo_u32 v6, v3, s44
	v_mul_lo_u32 v7, v3, s46
	;; [unrolled: 1-line block ×6, first 2 shown]
	v_lshrrev_b32_e32 v8, s52, v8
	v_add3_u32 v0, v3, v0, v1
	v_add3_u32 v1, v7, v4, v10
	v_mul_hi_u32 v4, s54, v8
	v_add_u32_e32 v4, v8, v4
	v_add3_u32 v2, v6, v2, v9
	v_lshrrev_b32_e32 v6, s55, v4
	v_mul_lo_u32 v3, v8, s42
	v_mul_lo_u32 v4, v6, s53
	s_add_u32 s2, s2, 48
	v_sub_u32_e32 v3, v5, v3
	v_sub_u32_e32 v4, v8, v4
	s_addc_u32 s3, s3, 0
	v_mul_lo_u32 v5, v3, s50
	v_mul_lo_u32 v7, v3, s51
	;; [unrolled: 1-line block ×6, first 2 shown]
	s_cmp_eq_u32 s20, s72
	v_add3_u32 v2, v5, v2, v8
	v_add3_u32 v4, v3, v1, v4
	;; [unrolled: 1-line block ×3, first 2 shown]
	s_cbranch_scc0 .LBB2_35
; %bb.36:
	v_mov_b32_e32 v1, v4
	s_and_b32 s36, s71, 3
	s_cmp_eq_u32 s36, 0
	s_cbranch_scc0 .LBB2_39
	s_branch .LBB2_41
.LBB2_37:
                                        ; implicit-def: $vgpr4
                                        ; implicit-def: $vgpr0
                                        ; implicit-def: $vgpr2
	s_branch .LBB2_42
.LBB2_38:
	v_mov_b32_e32 v0, 0
	s_mov_b32 s20, 0
	v_mov_b32_e32 v1, v0
                                        ; implicit-def: $vgpr4
	v_mov_b32_e32 v6, v14
	v_mov_b32_e32 v2, v0
	s_and_b32 s36, s71, 3
	s_cmp_eq_u32 s36, 0
	s_cbranch_scc1 .LBB2_41
.LBB2_39:
	s_mul_i32 s2, s20, 12
	s_add_u32 s2, s27, s2
	s_addc_u32 s3, s33, 0
	s_add_u32 s2, s2, 4
	s_addc_u32 s3, s3, 0
.LBB2_40:                               ; =>This Inner Loop Header: Depth=1
	s_load_dwordx2 s[38:39], s[2:3], 0x0
	s_load_dword s20, s[2:3], 0x8
	s_load_dwordx2 s[40:41], s[2:3], 0xc0
	s_load_dword s37, s[2:3], 0xc8
	v_mov_b32_e32 v4, v1
	s_waitcnt lgkmcnt(0)
	v_mul_hi_u32 v1, s39, v6
	v_add_u32_e32 v1, v6, v1
	v_lshrrev_b32_e32 v1, s20, v1
	v_mul_lo_u32 v3, v1, s38
	s_add_u32 s2, s2, 12
	v_sub_u32_e32 v7, v6, v3
	s_addc_u32 s3, s3, 0
	s_add_i32 s36, s36, -1
	v_mov_b32_e32 v6, v1
	v_mad_u64_u32 v[4:5], s[38:39], v7, s37, v[4:5]
	v_mad_u64_u32 v[0:1], s[38:39], v7, s41, v[0:1]
	s_cmp_lg_u32 s36, 0
	v_mad_u64_u32 v[2:3], s[38:39], v7, s40, v[2:3]
	v_mov_b32_e32 v1, v4
	s_cbranch_scc1 .LBB2_40
.LBB2_41:
	s_cbranch_execnz .LBB2_44
.LBB2_42:
	v_mul_hi_u32 v0, s22, v14
	v_add_u32_e32 v0, v14, v0
	v_lshrrev_b32_e32 v1, s23, v0
	v_mul_lo_u32 v0, v1, s21
	v_sub_u32_e32 v0, v14, v0
	v_mul_lo_u32 v2, v0, s28
	v_mul_lo_u32 v4, v0, s30
	s_andn2_b64 vcc, exec, s[60:61]
	v_mul_lo_u32 v0, v0, s29
	s_cbranch_vccnz .LBB2_44
; %bb.43:
	v_mul_hi_u32 v3, s25, v1
	v_add_u32_e32 v3, v1, v3
	v_lshrrev_b32_e32 v3, s26, v3
	v_mul_lo_u32 v3, v3, s24
	v_sub_u32_e32 v5, v1, v3
	v_mad_u64_u32 v[2:3], s[2:3], v5, s31, v[2:3]
	v_mad_u64_u32 v[0:1], s[2:3], v5, s34, v[0:1]
	;; [unrolled: 1-line block ×3, first 2 shown]
.LBB2_44:
	global_load_dwordx2 v[4:5], v4, s[8:9]
	v_mov_b64_e32 v[6:7], 0
	s_waitcnt vmcnt(0)
	v_cmp_lt_i64_e32 vcc, s[10:11], v[4:5]
	s_and_saveexec_b64 s[36:37], vcc
	s_cbranch_execz .LBB2_50
; %bb.45:
	v_mov_b32_e32 v1, s11
	v_subrev_co_u32_e32 v8, vcc, s10, v4
	v_mov_b32_e32 v10, 0
	s_nop 0
	v_subb_co_u32_e32 v9, vcc, v5, v1, vcc
	v_or_b32_e32 v11, s13, v9
	v_cmp_ne_u64_e32 vcc, 0, v[10:11]
                                        ; implicit-def: $vgpr6_vgpr7
	s_and_saveexec_b64 s[2:3], vcc
	s_xor_b64 s[38:39], exec, s[2:3]
	s_cbranch_execz .LBB2_47
; %bb.46:
	s_ashr_i32 s40, s13, 31
	s_add_u32 s2, s12, s40
	s_mov_b32 s41, s40
	s_addc_u32 s3, s13, s40
	s_xor_b64 s[42:43], s[2:3], s[40:41]
	v_cvt_f32_u32_e32 v1, s42
	v_cvt_f32_u32_e32 v3, s43
	s_sub_u32 s20, 0, s42
	s_subb_u32 s41, 0, s43
	v_ashrrev_i32_e32 v6, 31, v9
	v_fmamk_f32 v1, v3, 0x4f800000, v1
	v_rcp_f32_e32 v1, v1
	v_mov_b32_e32 v7, v6
	v_lshl_add_u64 v[8:9], v[8:9], 0, v[6:7]
	v_mov_b32_e32 v13, v10
	v_mul_f32_e32 v1, 0x5f7ffffc, v1
	v_mul_f32_e32 v3, 0x2f800000, v1
	v_trunc_f32_e32 v3, v3
	v_fmamk_f32 v1, v3, 0xcf800000, v1
	v_cvt_u32_f32_e32 v3, v3
	v_cvt_u32_f32_e32 v1, v1
	v_readfirstlane_b32 s44, v3
	v_readfirstlane_b32 s2, v1
	s_mul_i32 s3, s20, s44
	s_mul_hi_u32 s46, s20, s2
	s_mul_i32 s45, s41, s2
	s_add_i32 s3, s46, s3
	s_add_i32 s3, s3, s45
	s_mul_i32 s47, s20, s2
	s_mul_i32 s46, s2, s3
	s_mul_hi_u32 s48, s2, s47
	s_mul_hi_u32 s45, s2, s3
	s_add_u32 s46, s48, s46
	s_addc_u32 s45, 0, s45
	s_mul_hi_u32 s49, s44, s47
	s_mul_i32 s47, s44, s47
	s_add_u32 s46, s46, s47
	s_mul_hi_u32 s48, s44, s3
	s_addc_u32 s45, s45, s49
	s_addc_u32 s46, s48, 0
	s_mul_i32 s3, s44, s3
	s_add_u32 s3, s45, s3
	s_addc_u32 s45, 0, s46
	s_add_u32 s46, s2, s3
	s_cselect_b64 s[2:3], -1, 0
	s_cmp_lg_u64 s[2:3], 0
	s_addc_u32 s44, s44, s45
	s_mul_i32 s2, s20, s44
	s_mul_hi_u32 s3, s20, s46
	s_add_i32 s2, s3, s2
	s_mul_i32 s41, s41, s46
	s_add_i32 s2, s2, s41
	s_mul_i32 s20, s20, s46
	s_mul_hi_u32 s41, s44, s20
	s_mul_i32 s45, s44, s20
	s_mul_i32 s48, s46, s2
	s_mul_hi_u32 s20, s46, s20
	s_mul_hi_u32 s47, s46, s2
	s_add_u32 s20, s20, s48
	s_addc_u32 s47, 0, s47
	s_add_u32 s20, s20, s45
	s_mul_hi_u32 s3, s44, s2
	s_addc_u32 s20, s47, s41
	s_addc_u32 s3, s3, 0
	s_mul_i32 s2, s44, s2
	s_add_u32 s2, s20, s2
	s_addc_u32 s20, 0, s3
	s_add_u32 s41, s46, s2
	s_cselect_b64 s[2:3], -1, 0
	s_cmp_lg_u64 s[2:3], 0
	s_addc_u32 s20, s44, s20
	v_xor_b32_e32 v3, v8, v6
	v_xor_b32_e32 v1, v9, v6
	v_mad_u64_u32 v[8:9], s[2:3], v3, s20, 0
	v_mul_hi_u32 v12, v3, s41
	v_lshl_add_u64 v[8:9], v[12:13], 0, v[8:9]
	v_mad_u64_u32 v[16:17], s[2:3], v1, s41, 0
	v_add_co_u32_e32 v7, vcc, v8, v16
	v_mad_u64_u32 v[12:13], s[2:3], v1, s20, 0
	s_nop 0
	v_addc_co_u32_e32 v8, vcc, v9, v17, vcc
	v_mov_b32_e32 v9, v10
	s_nop 0
	v_addc_co_u32_e32 v13, vcc, 0, v13, vcc
	v_lshl_add_u64 v[8:9], v[8:9], 0, v[12:13]
	v_mul_lo_u32 v7, s43, v8
	v_mul_lo_u32 v12, s42, v9
	v_mad_u64_u32 v[10:11], s[2:3], s42, v8, 0
	v_add3_u32 v7, v11, v12, v7
	v_sub_u32_e32 v11, v1, v7
	v_mov_b32_e32 v12, s43
	v_sub_co_u32_e32 v3, vcc, v3, v10
	s_nop 1
	v_subb_co_u32_e64 v10, s[2:3], v11, v12, vcc
	v_subrev_co_u32_e64 v11, s[2:3], s42, v3
	v_subb_co_u32_e32 v1, vcc, v1, v7, vcc
	s_nop 0
	v_subbrev_co_u32_e64 v10, s[2:3], 0, v10, s[2:3]
	v_cmp_le_u32_e64 s[2:3], s43, v10
	v_cmp_le_u32_e32 vcc, s43, v1
	s_nop 0
	v_cndmask_b32_e64 v12, 0, -1, s[2:3]
	v_cmp_le_u32_e64 s[2:3], s42, v11
	v_cndmask_b32_e64 v7, 0, -1, vcc
	v_cmp_le_u32_e32 vcc, s42, v3
	v_cndmask_b32_e64 v11, 0, -1, s[2:3]
	v_cmp_eq_u32_e64 s[2:3], s43, v10
	v_cndmask_b32_e64 v3, 0, -1, vcc
	v_cmp_eq_u32_e32 vcc, s43, v1
	v_cndmask_b32_e64 v15, v12, v11, s[2:3]
	v_lshl_add_u64 v[10:11], v[8:9], 0, 2
	v_lshl_add_u64 v[12:13], v[8:9], 0, 1
	v_cmp_ne_u32_e64 s[2:3], 0, v15
	v_cndmask_b32_e32 v1, v7, v3, vcc
	v_cmp_ne_u32_e32 vcc, 0, v1
	v_cndmask_b32_e64 v3, v12, v10, s[2:3]
	v_cndmask_b32_e64 v11, v13, v11, s[2:3]
	v_cndmask_b32_e32 v3, v8, v3, vcc
	v_xor_b32_e32 v7, s40, v6
	v_cndmask_b32_e32 v1, v9, v11, vcc
	v_xor_b32_e32 v3, v3, v7
	v_xor_b32_e32 v1, v1, v7
	v_sub_co_u32_e32 v6, vcc, v3, v7
                                        ; implicit-def: $vgpr8
	s_nop 1
	v_subb_co_u32_e32 v7, vcc, v1, v7, vcc
.LBB2_47:
	s_andn2_saveexec_b64 s[2:3], s[38:39]
	s_cbranch_execz .LBB2_49
; %bb.48:
	v_cvt_f32_u32_e32 v1, s12
	s_sub_i32 s20, 0, s12
	v_rcp_iflag_f32_e32 v1, v1
	s_nop 0
	v_mul_f32_e32 v1, 0x4f7ffffe, v1
	v_cvt_u32_f32_e32 v1, v1
	v_mul_lo_u32 v3, s20, v1
	v_mul_hi_u32 v3, v1, v3
	v_add_u32_e32 v1, v1, v3
	v_mul_hi_u32 v1, v8, v1
	v_mul_lo_u32 v3, v1, s12
	v_sub_u32_e32 v3, v8, v3
	v_add_u32_e32 v6, 1, v1
	v_subrev_u32_e32 v7, s12, v3
	v_cmp_le_u32_e32 vcc, s12, v3
	s_nop 1
	v_cndmask_b32_e32 v3, v3, v7, vcc
	v_cndmask_b32_e32 v1, v1, v6, vcc
	v_add_u32_e32 v6, 1, v1
	v_cmp_le_u32_e32 vcc, s12, v3
	v_mov_b32_e32 v7, 0
	s_nop 0
	v_cndmask_b32_e32 v6, v1, v6, vcc
.LBB2_49:
	s_or_b64 exec, exec, s[2:3]
.LBB2_50:
	s_or_b64 exec, exec, s[36:37]
	v_or_b32_e32 v9, s13, v5
	v_mov_b32_e32 v8, 0
	v_cmp_ne_u64_e32 vcc, 0, v[8:9]
                                        ; implicit-def: $vgpr10_vgpr11
	s_and_saveexec_b64 s[2:3], vcc
	s_xor_b64 s[36:37], exec, s[2:3]
	s_cbranch_execz .LBB2_52
; %bb.51:
	s_ashr_i32 s38, s13, 31
	s_add_u32 s2, s12, s38
	s_mov_b32 s39, s38
	s_addc_u32 s3, s13, s38
	s_xor_b64 s[40:41], s[2:3], s[38:39]
	v_cvt_f32_u32_e32 v1, s40
	v_cvt_f32_u32_e32 v3, s41
	s_sub_u32 s20, 0, s40
	s_subb_u32 s39, 0, s41
	v_ashrrev_i32_e32 v10, 31, v5
	v_fmamk_f32 v1, v3, 0x4f800000, v1
	v_rcp_f32_e32 v1, v1
	v_mov_b32_e32 v11, v10
	v_lshl_add_u64 v[12:13], v[4:5], 0, v[10:11]
	v_mov_b32_e32 v17, v8
	v_mul_f32_e32 v1, 0x5f7ffffc, v1
	v_mul_f32_e32 v3, 0x2f800000, v1
	v_trunc_f32_e32 v3, v3
	v_fmamk_f32 v1, v3, 0xcf800000, v1
	v_cvt_u32_f32_e32 v3, v3
	v_cvt_u32_f32_e32 v1, v1
	v_readfirstlane_b32 s42, v3
	v_readfirstlane_b32 s2, v1
	s_mul_i32 s3, s20, s42
	s_mul_hi_u32 s44, s20, s2
	s_mul_i32 s43, s39, s2
	s_add_i32 s3, s44, s3
	s_add_i32 s3, s3, s43
	s_mul_i32 s45, s20, s2
	s_mul_i32 s44, s2, s3
	s_mul_hi_u32 s46, s2, s45
	s_mul_hi_u32 s43, s2, s3
	s_add_u32 s44, s46, s44
	s_addc_u32 s43, 0, s43
	s_mul_hi_u32 s47, s42, s45
	s_mul_i32 s45, s42, s45
	s_add_u32 s44, s44, s45
	s_mul_hi_u32 s46, s42, s3
	s_addc_u32 s43, s43, s47
	s_addc_u32 s44, s46, 0
	s_mul_i32 s3, s42, s3
	s_add_u32 s3, s43, s3
	s_addc_u32 s43, 0, s44
	s_add_u32 s44, s2, s3
	s_cselect_b64 s[2:3], -1, 0
	s_cmp_lg_u64 s[2:3], 0
	s_addc_u32 s42, s42, s43
	s_mul_i32 s2, s20, s42
	s_mul_hi_u32 s3, s20, s44
	s_add_i32 s2, s3, s2
	s_mul_i32 s39, s39, s44
	s_add_i32 s2, s2, s39
	s_mul_i32 s20, s20, s44
	s_mul_hi_u32 s39, s42, s20
	s_mul_i32 s43, s42, s20
	s_mul_i32 s46, s44, s2
	s_mul_hi_u32 s20, s44, s20
	s_mul_hi_u32 s45, s44, s2
	s_add_u32 s20, s20, s46
	s_addc_u32 s45, 0, s45
	s_add_u32 s20, s20, s43
	s_mul_hi_u32 s3, s42, s2
	s_addc_u32 s20, s45, s39
	s_addc_u32 s3, s3, 0
	s_mul_i32 s2, s42, s2
	s_add_u32 s2, s20, s2
	s_addc_u32 s20, 0, s3
	s_add_u32 s39, s44, s2
	s_cselect_b64 s[2:3], -1, 0
	s_cmp_lg_u64 s[2:3], 0
	s_addc_u32 s20, s42, s20
	v_xor_b32_e32 v3, v12, v10
	v_xor_b32_e32 v1, v13, v10
	v_mad_u64_u32 v[12:13], s[2:3], v3, s20, 0
	v_mul_hi_u32 v16, v3, s39
	v_lshl_add_u64 v[12:13], v[16:17], 0, v[12:13]
	v_mad_u64_u32 v[18:19], s[2:3], v1, s39, 0
	v_add_co_u32_e32 v9, vcc, v12, v18
	v_mad_u64_u32 v[16:17], s[2:3], v1, s20, 0
	s_nop 0
	v_addc_co_u32_e32 v12, vcc, v13, v19, vcc
	v_mov_b32_e32 v13, v8
	s_nop 0
	v_addc_co_u32_e32 v17, vcc, 0, v17, vcc
	v_lshl_add_u64 v[8:9], v[12:13], 0, v[16:17]
	v_mul_lo_u32 v11, s41, v8
	v_mul_lo_u32 v15, s40, v9
	v_mad_u64_u32 v[12:13], s[2:3], s40, v8, 0
	v_add3_u32 v11, v13, v15, v11
	v_sub_u32_e32 v13, v1, v11
	v_mov_b32_e32 v15, s41
	v_sub_co_u32_e32 v3, vcc, v3, v12
	v_lshl_add_u64 v[16:17], v[8:9], 0, 1
	s_nop 0
	v_subb_co_u32_e64 v12, s[2:3], v13, v15, vcc
	v_subrev_co_u32_e64 v13, s[2:3], s40, v3
	v_subb_co_u32_e32 v1, vcc, v1, v11, vcc
	s_nop 0
	v_subbrev_co_u32_e64 v12, s[2:3], 0, v12, s[2:3]
	v_cmp_le_u32_e64 s[2:3], s41, v12
	v_cmp_le_u32_e32 vcc, s41, v1
	s_nop 0
	v_cndmask_b32_e64 v15, 0, -1, s[2:3]
	v_cmp_le_u32_e64 s[2:3], s40, v13
	v_cndmask_b32_e64 v11, 0, -1, vcc
	v_cmp_le_u32_e32 vcc, s40, v3
	v_cndmask_b32_e64 v13, 0, -1, s[2:3]
	v_cmp_eq_u32_e64 s[2:3], s41, v12
	v_cndmask_b32_e64 v3, 0, -1, vcc
	v_cmp_eq_u32_e32 vcc, s41, v1
	v_cndmask_b32_e64 v15, v15, v13, s[2:3]
	v_lshl_add_u64 v[12:13], v[8:9], 0, 2
	v_cmp_ne_u32_e64 s[2:3], 0, v15
	v_cndmask_b32_e32 v1, v11, v3, vcc
	v_cmp_ne_u32_e32 vcc, 0, v1
	v_cndmask_b32_e64 v3, v16, v12, s[2:3]
	v_cndmask_b32_e64 v13, v17, v13, s[2:3]
	v_cndmask_b32_e32 v3, v8, v3, vcc
	v_xor_b32_e32 v8, s38, v10
	v_cndmask_b32_e32 v1, v9, v13, vcc
	v_xor_b32_e32 v3, v3, v8
	v_xor_b32_e32 v1, v1, v8
	v_sub_co_u32_e32 v10, vcc, v3, v8
	s_nop 1
	v_subb_co_u32_e32 v11, vcc, v1, v8, vcc
.LBB2_52:
	s_andn2_saveexec_b64 s[2:3], s[36:37]
	s_cbranch_execz .LBB2_54
; %bb.53:
	v_cvt_f32_u32_e32 v1, s12
	s_sub_i32 s20, 0, s12
	v_mov_b32_e32 v11, 0
	v_rcp_iflag_f32_e32 v1, v1
	s_nop 0
	v_mul_f32_e32 v1, 0x4f7ffffe, v1
	v_cvt_u32_f32_e32 v1, v1
	v_mul_lo_u32 v3, s20, v1
	v_mul_hi_u32 v3, v1, v3
	v_add_u32_e32 v1, v1, v3
	v_mul_hi_u32 v1, v4, v1
	v_mul_lo_u32 v3, v1, s12
	v_sub_u32_e32 v3, v4, v3
	v_add_u32_e32 v8, 1, v1
	v_subrev_u32_e32 v9, s12, v3
	v_cmp_le_u32_e32 vcc, s12, v3
	s_nop 1
	v_cndmask_b32_e32 v3, v3, v9, vcc
	v_cndmask_b32_e32 v1, v1, v8, vcc
	v_add_u32_e32 v8, 1, v1
	v_cmp_le_u32_e32 vcc, s12, v3
	s_nop 1
	v_cndmask_b32_e32 v10, v1, v8, vcc
.LBB2_54:
	s_or_b64 exec, exec, s[2:3]
	v_mul_lo_u32 v1, v7, s12
	v_mul_lo_u32 v3, v6, s13
	v_mad_u64_u32 v[8:9], s[2:3], v6, s12, 0
	v_add3_u32 v9, v9, v3, v1
	v_cmp_gt_i64_e32 vcc, v[8:9], v[4:5]
	v_mov_b64_e32 v[8:9], s[10:11]
	v_mad_u64_u32 v[8:9], s[2:3], v6, s12, v[8:9]
	v_add3_u32 v9, v1, v9, v3
	v_cmp_ge_i64_e64 s[2:3], v[4:5], v[8:9]
	s_or_b64 s[2:3], vcc, s[2:3]
	v_mov_b32_e32 v1, s15
	v_cndmask_b32_e64 v8, 0, 1, s[2:3]
	s_mov_b32 s2, 0
	v_mov_b32_e32 v9, s2
	v_cmp_gt_i64_e32 vcc, s[14:15], v[10:11]
	v_lshl_add_u64 v[12:13], v[6:7], 0, v[8:9]
	s_nop 0
	v_cndmask_b32_e32 v7, v1, v11, vcc
	v_mov_b32_e32 v1, s14
	v_cndmask_b32_e32 v6, v1, v10, vcc
	v_cmp_le_i64_e32 vcc, v[12:13], v[6:7]
	s_and_saveexec_b64 s[2:3], vcc
	s_cbranch_execz .LBB2_57
; %bb.55:
	global_load_dword v10, v2, s[4:5]
	v_mul_lo_u32 v11, s13, v12
	v_mul_lo_u32 v15, s12, v13
	v_mad_u64_u32 v[16:17], s[36:37], s12, v12, 0
	v_add3_u32 v11, v17, v15, v11
	v_sub_co_u32_e32 v4, vcc, v4, v16
	v_mov_b32_e32 v3, 0
	s_nop 0
	v_subb_co_u32_e32 v5, vcc, v5, v11, vcc
	v_mul_lo_u32 v11, s19, v4
	v_mul_lo_u32 v15, s18, v5
	v_mad_u64_u32 v[4:5], s[36:37], s18, v4, 0
	v_lshl_add_u64 v[8:9], s[4:5], 0, v[2:3]
	v_mov_b32_e32 v1, v3
	v_lshl_add_u64 v[2:3], v[12:13], 0, -1
	v_add3_u32 v5, v5, v15, v11
	v_mul_lo_u32 v11, s17, v12
	v_mul_lo_u32 v15, s16, v13
	v_mad_u64_u32 v[12:13], s[36:37], s16, v12, 0
	s_mul_i32 s20, s12, s19
	s_mul_hi_u32 s38, s12, s18
	v_add3_u32 v13, v13, v15, v11
	s_add_i32 s20, s38, s20
	s_mul_i32 s38, s13, s18
	v_lshlrev_b64 v[12:13], 2, v[12:13]
	s_add_i32 s39, s20, s38
	s_mul_i32 s38, s12, s18
	v_lshl_add_u64 v[4:5], v[4:5], 2, v[12:13]
	s_lshl_b64 s[36:37], s[16:17], 2
	s_lshl_b64 s[38:39], s[38:39], 2
	v_lshl_add_u64 v[0:1], v[4:5], 0, v[0:1]
	s_sub_u32 s36, s36, s38
	v_lshl_add_u64 v[0:1], s[6:7], 0, v[0:1]
	s_subb_u32 s37, s37, s39
	s_mov_b64 s[38:39], 0
.LBB2_56:                               ; =>This Inner Loop Header: Depth=1
	global_load_dword v4, v[0:1], off
	v_lshl_add_u64 v[2:3], v[2:3], 0, 1
	v_cmp_ge_i64_e32 vcc, v[2:3], v[6:7]
	v_lshl_add_u64 v[0:1], v[0:1], 0, s[36:37]
	s_or_b64 s[38:39], vcc, s[38:39]
	s_waitcnt vmcnt(0)
	v_add_u32_e32 v10, v4, v10
	global_store_dword v[8:9], v10, off
	s_andn2_b64 exec, exec, s[38:39]
	s_cbranch_execnz .LBB2_56
.LBB2_57:
	s_or_b64 exec, exec, s[2:3]
	v_add_u32_e32 v14, 0x100, v14
	s_or_b64 exec, exec, s[66:67]
	v_cmp_gt_i32_e32 vcc, s70, v14
	s_and_saveexec_b64 s[66:67], vcc
	s_cbranch_execz .LBB2_3
.LBB2_58:
	s_and_b64 vcc, exec, s[0:1]
	s_cbranch_vccnz .LBB2_64
; %bb.59:
	v_mov_b32_e32 v4, 0
	s_andn2_b64 vcc, exec, s[64:65]
	v_mov_b32_e32 v0, 0
	v_mov_b32_e32 v2, 0
	s_cbranch_vccnz .LBB2_68
; %bb.60:
	s_add_i32 s71, s69, 1
	s_cmp_eq_u32 s68, 2
	s_cbranch_scc1 .LBB2_65
; %bb.61:
	s_and_b32 s20, s71, 28
	v_mov_b32_e32 v2, 0
	s_mov_b32 s72, 0
	s_mov_b64 s[2:3], s[62:63]
	v_mov_b32_e32 v6, v14
	v_mov_b32_e32 v0, 0
	;; [unrolled: 1-line block ×3, first 2 shown]
.LBB2_62:                               ; =>This Inner Loop Header: Depth=1
	s_load_dwordx8 s[36:43], s[2:3], 0x0
	s_load_dwordx4 s[52:55], s[2:3], 0x20
	s_load_dwordx4 s[56:59], s[2:3], 0xe0
	s_load_dwordx8 s[44:51], s[2:3], 0xc0
	s_add_i32 s72, s72, 4
	s_waitcnt lgkmcnt(0)
	v_mul_hi_u32 v1, s37, v6
	v_add_u32_e32 v1, v6, v1
	v_lshrrev_b32_e32 v1, s38, v1
	v_mul_hi_u32 v5, s40, v1
	v_add_u32_e32 v5, v1, v5
	v_lshrrev_b32_e32 v5, s41, v5
	v_mul_lo_u32 v3, v1, s36
	v_mul_lo_u32 v8, v5, s39
	v_mul_hi_u32 v9, s43, v5
	v_sub_u32_e32 v3, v6, v3
	v_sub_u32_e32 v1, v1, v8
	v_add_u32_e32 v8, v5, v9
	v_mul_lo_u32 v6, v3, s44
	v_mul_lo_u32 v7, v3, s46
	;; [unrolled: 1-line block ×6, first 2 shown]
	v_lshrrev_b32_e32 v8, s52, v8
	v_add3_u32 v0, v3, v0, v1
	v_add3_u32 v1, v7, v4, v10
	v_mul_hi_u32 v4, s54, v8
	v_add_u32_e32 v4, v8, v4
	v_add3_u32 v2, v6, v2, v9
	v_lshrrev_b32_e32 v6, s55, v4
	v_mul_lo_u32 v3, v8, s42
	v_mul_lo_u32 v4, v6, s53
	s_add_u32 s2, s2, 48
	v_sub_u32_e32 v3, v5, v3
	v_sub_u32_e32 v4, v8, v4
	s_addc_u32 s3, s3, 0
	v_mul_lo_u32 v5, v3, s50
	v_mul_lo_u32 v7, v3, s51
	;; [unrolled: 1-line block ×6, first 2 shown]
	s_cmp_eq_u32 s20, s72
	v_add3_u32 v2, v5, v2, v8
	v_add3_u32 v4, v3, v1, v4
	;; [unrolled: 1-line block ×3, first 2 shown]
	s_cbranch_scc0 .LBB2_62
; %bb.63:
	v_mov_b32_e32 v1, v4
	s_and_b32 s36, s71, 3
	s_cmp_eq_u32 s36, 0
	s_cbranch_scc0 .LBB2_66
	s_branch .LBB2_68
.LBB2_64:
                                        ; implicit-def: $vgpr4
                                        ; implicit-def: $vgpr0
                                        ; implicit-def: $vgpr2
	s_branch .LBB2_69
.LBB2_65:
	v_mov_b32_e32 v0, 0
	s_mov_b32 s20, 0
	v_mov_b32_e32 v1, v0
                                        ; implicit-def: $vgpr4
	v_mov_b32_e32 v6, v14
	v_mov_b32_e32 v2, v0
	s_and_b32 s36, s71, 3
	s_cmp_eq_u32 s36, 0
	s_cbranch_scc1 .LBB2_68
.LBB2_66:
	s_mul_i32 s2, s20, 12
	s_add_u32 s2, s27, s2
	s_addc_u32 s3, s33, 0
	s_add_u32 s2, s2, 4
	s_addc_u32 s3, s3, 0
.LBB2_67:                               ; =>This Inner Loop Header: Depth=1
	s_load_dwordx2 s[38:39], s[2:3], 0x0
	s_load_dword s20, s[2:3], 0x8
	s_load_dwordx2 s[40:41], s[2:3], 0xc0
	s_load_dword s37, s[2:3], 0xc8
	v_mov_b32_e32 v4, v1
	s_waitcnt lgkmcnt(0)
	v_mul_hi_u32 v1, s39, v6
	v_add_u32_e32 v1, v6, v1
	v_lshrrev_b32_e32 v1, s20, v1
	v_mul_lo_u32 v3, v1, s38
	s_add_u32 s2, s2, 12
	v_sub_u32_e32 v7, v6, v3
	s_addc_u32 s3, s3, 0
	s_add_i32 s36, s36, -1
	v_mov_b32_e32 v6, v1
	v_mad_u64_u32 v[4:5], s[38:39], v7, s37, v[4:5]
	v_mad_u64_u32 v[0:1], s[38:39], v7, s41, v[0:1]
	s_cmp_lg_u32 s36, 0
	v_mad_u64_u32 v[2:3], s[38:39], v7, s40, v[2:3]
	v_mov_b32_e32 v1, v4
	s_cbranch_scc1 .LBB2_67
.LBB2_68:
	s_cbranch_execnz .LBB2_71
.LBB2_69:
	v_mul_hi_u32 v0, s22, v14
	v_add_u32_e32 v0, v14, v0
	v_lshrrev_b32_e32 v1, s23, v0
	v_mul_lo_u32 v0, v1, s21
	v_sub_u32_e32 v0, v14, v0
	v_mul_lo_u32 v2, v0, s28
	v_mul_lo_u32 v4, v0, s30
	s_andn2_b64 vcc, exec, s[60:61]
	v_mul_lo_u32 v0, v0, s29
	s_cbranch_vccnz .LBB2_71
; %bb.70:
	v_mul_hi_u32 v3, s25, v1
	v_add_u32_e32 v3, v1, v3
	v_lshrrev_b32_e32 v3, s26, v3
	v_mul_lo_u32 v3, v3, s24
	v_sub_u32_e32 v5, v1, v3
	v_mad_u64_u32 v[2:3], s[2:3], v5, s31, v[2:3]
	v_mad_u64_u32 v[0:1], s[2:3], v5, s34, v[0:1]
	;; [unrolled: 1-line block ×3, first 2 shown]
.LBB2_71:
	global_load_dwordx2 v[4:5], v4, s[8:9]
	v_mov_b64_e32 v[6:7], 0
	s_waitcnt vmcnt(0)
	v_cmp_lt_i64_e32 vcc, s[10:11], v[4:5]
	s_and_saveexec_b64 s[36:37], vcc
	s_cbranch_execz .LBB2_77
; %bb.72:
	v_mov_b32_e32 v1, s11
	v_subrev_co_u32_e32 v8, vcc, s10, v4
	v_mov_b32_e32 v10, 0
	s_nop 0
	v_subb_co_u32_e32 v9, vcc, v5, v1, vcc
	v_or_b32_e32 v11, s13, v9
	v_cmp_ne_u64_e32 vcc, 0, v[10:11]
                                        ; implicit-def: $vgpr6_vgpr7
	s_and_saveexec_b64 s[2:3], vcc
	s_xor_b64 s[38:39], exec, s[2:3]
	s_cbranch_execz .LBB2_74
; %bb.73:
	s_ashr_i32 s40, s13, 31
	s_add_u32 s2, s12, s40
	s_mov_b32 s41, s40
	s_addc_u32 s3, s13, s40
	s_xor_b64 s[42:43], s[2:3], s[40:41]
	v_cvt_f32_u32_e32 v1, s42
	v_cvt_f32_u32_e32 v3, s43
	s_sub_u32 s20, 0, s42
	s_subb_u32 s41, 0, s43
	v_ashrrev_i32_e32 v6, 31, v9
	v_fmamk_f32 v1, v3, 0x4f800000, v1
	v_rcp_f32_e32 v1, v1
	v_mov_b32_e32 v7, v6
	v_lshl_add_u64 v[8:9], v[8:9], 0, v[6:7]
	v_mov_b32_e32 v13, v10
	v_mul_f32_e32 v1, 0x5f7ffffc, v1
	v_mul_f32_e32 v3, 0x2f800000, v1
	v_trunc_f32_e32 v3, v3
	v_fmamk_f32 v1, v3, 0xcf800000, v1
	v_cvt_u32_f32_e32 v3, v3
	v_cvt_u32_f32_e32 v1, v1
	v_readfirstlane_b32 s44, v3
	v_readfirstlane_b32 s2, v1
	s_mul_i32 s3, s20, s44
	s_mul_hi_u32 s46, s20, s2
	s_mul_i32 s45, s41, s2
	s_add_i32 s3, s46, s3
	s_add_i32 s3, s3, s45
	s_mul_i32 s47, s20, s2
	s_mul_i32 s46, s2, s3
	s_mul_hi_u32 s48, s2, s47
	s_mul_hi_u32 s45, s2, s3
	s_add_u32 s46, s48, s46
	s_addc_u32 s45, 0, s45
	s_mul_hi_u32 s49, s44, s47
	s_mul_i32 s47, s44, s47
	s_add_u32 s46, s46, s47
	s_mul_hi_u32 s48, s44, s3
	s_addc_u32 s45, s45, s49
	s_addc_u32 s46, s48, 0
	s_mul_i32 s3, s44, s3
	s_add_u32 s3, s45, s3
	s_addc_u32 s45, 0, s46
	s_add_u32 s46, s2, s3
	s_cselect_b64 s[2:3], -1, 0
	s_cmp_lg_u64 s[2:3], 0
	s_addc_u32 s44, s44, s45
	s_mul_i32 s2, s20, s44
	s_mul_hi_u32 s3, s20, s46
	s_add_i32 s2, s3, s2
	s_mul_i32 s41, s41, s46
	s_add_i32 s2, s2, s41
	s_mul_i32 s20, s20, s46
	s_mul_hi_u32 s41, s44, s20
	s_mul_i32 s45, s44, s20
	s_mul_i32 s48, s46, s2
	s_mul_hi_u32 s20, s46, s20
	s_mul_hi_u32 s47, s46, s2
	s_add_u32 s20, s20, s48
	s_addc_u32 s47, 0, s47
	s_add_u32 s20, s20, s45
	s_mul_hi_u32 s3, s44, s2
	s_addc_u32 s20, s47, s41
	s_addc_u32 s3, s3, 0
	s_mul_i32 s2, s44, s2
	s_add_u32 s2, s20, s2
	s_addc_u32 s20, 0, s3
	s_add_u32 s41, s46, s2
	s_cselect_b64 s[2:3], -1, 0
	s_cmp_lg_u64 s[2:3], 0
	s_addc_u32 s20, s44, s20
	v_xor_b32_e32 v3, v8, v6
	v_xor_b32_e32 v1, v9, v6
	v_mad_u64_u32 v[8:9], s[2:3], v3, s20, 0
	v_mul_hi_u32 v12, v3, s41
	v_lshl_add_u64 v[8:9], v[12:13], 0, v[8:9]
	v_mad_u64_u32 v[16:17], s[2:3], v1, s41, 0
	v_add_co_u32_e32 v7, vcc, v8, v16
	v_mad_u64_u32 v[12:13], s[2:3], v1, s20, 0
	s_nop 0
	v_addc_co_u32_e32 v8, vcc, v9, v17, vcc
	v_mov_b32_e32 v9, v10
	s_nop 0
	v_addc_co_u32_e32 v13, vcc, 0, v13, vcc
	v_lshl_add_u64 v[8:9], v[8:9], 0, v[12:13]
	v_mul_lo_u32 v7, s43, v8
	v_mul_lo_u32 v12, s42, v9
	v_mad_u64_u32 v[10:11], s[2:3], s42, v8, 0
	v_add3_u32 v7, v11, v12, v7
	v_sub_u32_e32 v11, v1, v7
	v_mov_b32_e32 v12, s43
	v_sub_co_u32_e32 v3, vcc, v3, v10
	s_nop 1
	v_subb_co_u32_e64 v10, s[2:3], v11, v12, vcc
	v_subrev_co_u32_e64 v11, s[2:3], s42, v3
	v_subb_co_u32_e32 v1, vcc, v1, v7, vcc
	s_nop 0
	v_subbrev_co_u32_e64 v10, s[2:3], 0, v10, s[2:3]
	v_cmp_le_u32_e64 s[2:3], s43, v10
	v_cmp_le_u32_e32 vcc, s43, v1
	s_nop 0
	v_cndmask_b32_e64 v12, 0, -1, s[2:3]
	v_cmp_le_u32_e64 s[2:3], s42, v11
	v_cndmask_b32_e64 v7, 0, -1, vcc
	v_cmp_le_u32_e32 vcc, s42, v3
	v_cndmask_b32_e64 v11, 0, -1, s[2:3]
	v_cmp_eq_u32_e64 s[2:3], s43, v10
	v_cndmask_b32_e64 v3, 0, -1, vcc
	v_cmp_eq_u32_e32 vcc, s43, v1
	v_cndmask_b32_e64 v15, v12, v11, s[2:3]
	v_lshl_add_u64 v[10:11], v[8:9], 0, 2
	v_lshl_add_u64 v[12:13], v[8:9], 0, 1
	v_cmp_ne_u32_e64 s[2:3], 0, v15
	v_cndmask_b32_e32 v1, v7, v3, vcc
	v_cmp_ne_u32_e32 vcc, 0, v1
	v_cndmask_b32_e64 v3, v12, v10, s[2:3]
	v_cndmask_b32_e64 v11, v13, v11, s[2:3]
	v_cndmask_b32_e32 v3, v8, v3, vcc
	v_xor_b32_e32 v7, s40, v6
	v_cndmask_b32_e32 v1, v9, v11, vcc
	v_xor_b32_e32 v3, v3, v7
	v_xor_b32_e32 v1, v1, v7
	v_sub_co_u32_e32 v6, vcc, v3, v7
                                        ; implicit-def: $vgpr8
	s_nop 1
	v_subb_co_u32_e32 v7, vcc, v1, v7, vcc
.LBB2_74:
	s_andn2_saveexec_b64 s[2:3], s[38:39]
	s_cbranch_execz .LBB2_76
; %bb.75:
	v_cvt_f32_u32_e32 v1, s12
	s_sub_i32 s20, 0, s12
	v_rcp_iflag_f32_e32 v1, v1
	s_nop 0
	v_mul_f32_e32 v1, 0x4f7ffffe, v1
	v_cvt_u32_f32_e32 v1, v1
	v_mul_lo_u32 v3, s20, v1
	v_mul_hi_u32 v3, v1, v3
	v_add_u32_e32 v1, v1, v3
	v_mul_hi_u32 v1, v8, v1
	v_mul_lo_u32 v3, v1, s12
	v_sub_u32_e32 v3, v8, v3
	v_add_u32_e32 v6, 1, v1
	v_subrev_u32_e32 v7, s12, v3
	v_cmp_le_u32_e32 vcc, s12, v3
	s_nop 1
	v_cndmask_b32_e32 v3, v3, v7, vcc
	v_cndmask_b32_e32 v1, v1, v6, vcc
	v_add_u32_e32 v6, 1, v1
	v_cmp_le_u32_e32 vcc, s12, v3
	v_mov_b32_e32 v7, 0
	s_nop 0
	v_cndmask_b32_e32 v6, v1, v6, vcc
.LBB2_76:
	s_or_b64 exec, exec, s[2:3]
.LBB2_77:
	s_or_b64 exec, exec, s[36:37]
	v_or_b32_e32 v9, s13, v5
	v_mov_b32_e32 v8, 0
	v_cmp_ne_u64_e32 vcc, 0, v[8:9]
                                        ; implicit-def: $vgpr10_vgpr11
	s_and_saveexec_b64 s[2:3], vcc
	s_xor_b64 s[36:37], exec, s[2:3]
	s_cbranch_execz .LBB2_79
; %bb.78:
	s_ashr_i32 s38, s13, 31
	s_add_u32 s2, s12, s38
	s_mov_b32 s39, s38
	s_addc_u32 s3, s13, s38
	s_xor_b64 s[40:41], s[2:3], s[38:39]
	v_cvt_f32_u32_e32 v1, s40
	v_cvt_f32_u32_e32 v3, s41
	s_sub_u32 s20, 0, s40
	s_subb_u32 s39, 0, s41
	v_ashrrev_i32_e32 v10, 31, v5
	v_fmamk_f32 v1, v3, 0x4f800000, v1
	v_rcp_f32_e32 v1, v1
	v_mov_b32_e32 v11, v10
	v_lshl_add_u64 v[12:13], v[4:5], 0, v[10:11]
	v_mov_b32_e32 v17, v8
	v_mul_f32_e32 v1, 0x5f7ffffc, v1
	v_mul_f32_e32 v3, 0x2f800000, v1
	v_trunc_f32_e32 v3, v3
	v_fmamk_f32 v1, v3, 0xcf800000, v1
	v_cvt_u32_f32_e32 v3, v3
	v_cvt_u32_f32_e32 v1, v1
	v_readfirstlane_b32 s42, v3
	v_readfirstlane_b32 s2, v1
	s_mul_i32 s3, s20, s42
	s_mul_hi_u32 s44, s20, s2
	s_mul_i32 s43, s39, s2
	s_add_i32 s3, s44, s3
	s_add_i32 s3, s3, s43
	s_mul_i32 s45, s20, s2
	s_mul_i32 s44, s2, s3
	s_mul_hi_u32 s46, s2, s45
	s_mul_hi_u32 s43, s2, s3
	s_add_u32 s44, s46, s44
	s_addc_u32 s43, 0, s43
	s_mul_hi_u32 s47, s42, s45
	s_mul_i32 s45, s42, s45
	s_add_u32 s44, s44, s45
	s_mul_hi_u32 s46, s42, s3
	s_addc_u32 s43, s43, s47
	s_addc_u32 s44, s46, 0
	s_mul_i32 s3, s42, s3
	s_add_u32 s3, s43, s3
	s_addc_u32 s43, 0, s44
	s_add_u32 s44, s2, s3
	s_cselect_b64 s[2:3], -1, 0
	s_cmp_lg_u64 s[2:3], 0
	s_addc_u32 s42, s42, s43
	s_mul_i32 s2, s20, s42
	s_mul_hi_u32 s3, s20, s44
	s_add_i32 s2, s3, s2
	s_mul_i32 s39, s39, s44
	s_add_i32 s2, s2, s39
	s_mul_i32 s20, s20, s44
	s_mul_hi_u32 s39, s42, s20
	s_mul_i32 s43, s42, s20
	s_mul_i32 s46, s44, s2
	s_mul_hi_u32 s20, s44, s20
	s_mul_hi_u32 s45, s44, s2
	s_add_u32 s20, s20, s46
	s_addc_u32 s45, 0, s45
	s_add_u32 s20, s20, s43
	s_mul_hi_u32 s3, s42, s2
	s_addc_u32 s20, s45, s39
	s_addc_u32 s3, s3, 0
	s_mul_i32 s2, s42, s2
	s_add_u32 s2, s20, s2
	s_addc_u32 s20, 0, s3
	s_add_u32 s39, s44, s2
	s_cselect_b64 s[2:3], -1, 0
	s_cmp_lg_u64 s[2:3], 0
	s_addc_u32 s20, s42, s20
	v_xor_b32_e32 v3, v12, v10
	v_xor_b32_e32 v1, v13, v10
	v_mad_u64_u32 v[12:13], s[2:3], v3, s20, 0
	v_mul_hi_u32 v16, v3, s39
	v_lshl_add_u64 v[12:13], v[16:17], 0, v[12:13]
	v_mad_u64_u32 v[18:19], s[2:3], v1, s39, 0
	v_add_co_u32_e32 v9, vcc, v12, v18
	v_mad_u64_u32 v[16:17], s[2:3], v1, s20, 0
	s_nop 0
	v_addc_co_u32_e32 v12, vcc, v13, v19, vcc
	v_mov_b32_e32 v13, v8
	s_nop 0
	v_addc_co_u32_e32 v17, vcc, 0, v17, vcc
	v_lshl_add_u64 v[8:9], v[12:13], 0, v[16:17]
	v_mul_lo_u32 v11, s41, v8
	v_mul_lo_u32 v15, s40, v9
	v_mad_u64_u32 v[12:13], s[2:3], s40, v8, 0
	v_add3_u32 v11, v13, v15, v11
	v_sub_u32_e32 v13, v1, v11
	v_mov_b32_e32 v15, s41
	v_sub_co_u32_e32 v3, vcc, v3, v12
	v_lshl_add_u64 v[16:17], v[8:9], 0, 1
	s_nop 0
	v_subb_co_u32_e64 v12, s[2:3], v13, v15, vcc
	v_subrev_co_u32_e64 v13, s[2:3], s40, v3
	v_subb_co_u32_e32 v1, vcc, v1, v11, vcc
	s_nop 0
	v_subbrev_co_u32_e64 v12, s[2:3], 0, v12, s[2:3]
	v_cmp_le_u32_e64 s[2:3], s41, v12
	v_cmp_le_u32_e32 vcc, s41, v1
	s_nop 0
	v_cndmask_b32_e64 v15, 0, -1, s[2:3]
	v_cmp_le_u32_e64 s[2:3], s40, v13
	v_cndmask_b32_e64 v11, 0, -1, vcc
	v_cmp_le_u32_e32 vcc, s40, v3
	v_cndmask_b32_e64 v13, 0, -1, s[2:3]
	v_cmp_eq_u32_e64 s[2:3], s41, v12
	v_cndmask_b32_e64 v3, 0, -1, vcc
	v_cmp_eq_u32_e32 vcc, s41, v1
	v_cndmask_b32_e64 v15, v15, v13, s[2:3]
	v_lshl_add_u64 v[12:13], v[8:9], 0, 2
	v_cmp_ne_u32_e64 s[2:3], 0, v15
	v_cndmask_b32_e32 v1, v11, v3, vcc
	v_cmp_ne_u32_e32 vcc, 0, v1
	v_cndmask_b32_e64 v3, v16, v12, s[2:3]
	v_cndmask_b32_e64 v13, v17, v13, s[2:3]
	v_cndmask_b32_e32 v3, v8, v3, vcc
	v_xor_b32_e32 v8, s38, v10
	v_cndmask_b32_e32 v1, v9, v13, vcc
	v_xor_b32_e32 v3, v3, v8
	v_xor_b32_e32 v1, v1, v8
	v_sub_co_u32_e32 v10, vcc, v3, v8
	s_nop 1
	v_subb_co_u32_e32 v11, vcc, v1, v8, vcc
.LBB2_79:
	s_andn2_saveexec_b64 s[2:3], s[36:37]
	s_cbranch_execz .LBB2_81
; %bb.80:
	v_cvt_f32_u32_e32 v1, s12
	s_sub_i32 s20, 0, s12
	v_mov_b32_e32 v11, 0
	v_rcp_iflag_f32_e32 v1, v1
	s_nop 0
	v_mul_f32_e32 v1, 0x4f7ffffe, v1
	v_cvt_u32_f32_e32 v1, v1
	v_mul_lo_u32 v3, s20, v1
	v_mul_hi_u32 v3, v1, v3
	v_add_u32_e32 v1, v1, v3
	v_mul_hi_u32 v1, v4, v1
	v_mul_lo_u32 v3, v1, s12
	v_sub_u32_e32 v3, v4, v3
	v_add_u32_e32 v8, 1, v1
	v_subrev_u32_e32 v9, s12, v3
	v_cmp_le_u32_e32 vcc, s12, v3
	s_nop 1
	v_cndmask_b32_e32 v3, v3, v9, vcc
	v_cndmask_b32_e32 v1, v1, v8, vcc
	v_add_u32_e32 v8, 1, v1
	v_cmp_le_u32_e32 vcc, s12, v3
	s_nop 1
	v_cndmask_b32_e32 v10, v1, v8, vcc
.LBB2_81:
	s_or_b64 exec, exec, s[2:3]
	v_mul_lo_u32 v1, v7, s12
	v_mul_lo_u32 v3, v6, s13
	v_mad_u64_u32 v[8:9], s[2:3], v6, s12, 0
	v_add3_u32 v9, v9, v3, v1
	v_cmp_gt_i64_e32 vcc, v[8:9], v[4:5]
	v_mov_b64_e32 v[8:9], s[10:11]
	v_mad_u64_u32 v[8:9], s[2:3], v6, s12, v[8:9]
	v_add3_u32 v9, v1, v9, v3
	v_cmp_ge_i64_e64 s[2:3], v[4:5], v[8:9]
	s_or_b64 s[2:3], vcc, s[2:3]
	v_mov_b32_e32 v1, s15
	v_cndmask_b32_e64 v8, 0, 1, s[2:3]
	s_mov_b32 s2, 0
	v_mov_b32_e32 v9, s2
	v_cmp_gt_i64_e32 vcc, s[14:15], v[10:11]
	v_lshl_add_u64 v[12:13], v[6:7], 0, v[8:9]
	s_nop 0
	v_cndmask_b32_e32 v7, v1, v11, vcc
	v_mov_b32_e32 v1, s14
	v_cndmask_b32_e32 v6, v1, v10, vcc
	v_cmp_le_i64_e32 vcc, v[12:13], v[6:7]
	s_and_saveexec_b64 s[2:3], vcc
	s_cbranch_execz .LBB2_84
; %bb.82:
	global_load_dword v10, v2, s[4:5]
	v_mul_lo_u32 v11, s13, v12
	v_mul_lo_u32 v15, s12, v13
	v_mad_u64_u32 v[16:17], s[36:37], s12, v12, 0
	v_add3_u32 v11, v17, v15, v11
	v_sub_co_u32_e32 v4, vcc, v4, v16
	v_mov_b32_e32 v3, 0
	s_nop 0
	v_subb_co_u32_e32 v5, vcc, v5, v11, vcc
	v_mul_lo_u32 v11, s19, v4
	v_mul_lo_u32 v15, s18, v5
	v_mad_u64_u32 v[4:5], s[36:37], s18, v4, 0
	v_lshl_add_u64 v[8:9], s[4:5], 0, v[2:3]
	v_mov_b32_e32 v1, v3
	v_lshl_add_u64 v[2:3], v[12:13], 0, -1
	v_add3_u32 v5, v5, v15, v11
	v_mul_lo_u32 v11, s17, v12
	v_mul_lo_u32 v15, s16, v13
	v_mad_u64_u32 v[12:13], s[36:37], s16, v12, 0
	s_mul_i32 s20, s12, s19
	s_mul_hi_u32 s38, s12, s18
	v_add3_u32 v13, v13, v15, v11
	s_add_i32 s20, s38, s20
	s_mul_i32 s38, s13, s18
	v_lshlrev_b64 v[12:13], 2, v[12:13]
	s_add_i32 s39, s20, s38
	s_mul_i32 s38, s12, s18
	v_lshl_add_u64 v[4:5], v[4:5], 2, v[12:13]
	s_lshl_b64 s[36:37], s[16:17], 2
	s_lshl_b64 s[38:39], s[38:39], 2
	v_lshl_add_u64 v[0:1], v[4:5], 0, v[0:1]
	s_sub_u32 s36, s36, s38
	v_lshl_add_u64 v[0:1], s[6:7], 0, v[0:1]
	s_subb_u32 s37, s37, s39
	s_mov_b64 s[38:39], 0
.LBB2_83:                               ; =>This Inner Loop Header: Depth=1
	global_load_dword v4, v[0:1], off
	v_lshl_add_u64 v[2:3], v[2:3], 0, 1
	v_cmp_ge_i64_e32 vcc, v[2:3], v[6:7]
	v_lshl_add_u64 v[0:1], v[0:1], 0, s[36:37]
	s_or_b64 s[38:39], vcc, s[38:39]
	s_waitcnt vmcnt(0)
	v_add_u32_e32 v10, v4, v10
	global_store_dword v[8:9], v10, off
	s_andn2_b64 exec, exec, s[38:39]
	s_cbranch_execnz .LBB2_83
.LBB2_84:
	s_or_b64 exec, exec, s[2:3]
	v_add_u32_e32 v14, 0x100, v14
	s_or_b64 exec, exec, s[66:67]
	v_cmp_gt_i32_e32 vcc, s70, v14
	s_and_saveexec_b64 s[2:3], vcc
	s_cbranch_execz .LBB2_111
.LBB2_85:
	s_and_b64 vcc, exec, s[0:1]
	s_cbranch_vccnz .LBB2_91
; %bb.86:
	v_mov_b32_e32 v4, 0
	s_andn2_b64 vcc, exec, s[64:65]
	v_mov_b32_e32 v0, 0
	v_mov_b32_e32 v2, 0
	s_cbranch_vccnz .LBB2_95
; %bb.87:
	s_add_i32 s69, s69, 1
	s_cmp_eq_u32 s68, 2
	s_cbranch_scc1 .LBB2_92
; %bb.88:
	s_and_b32 s20, s69, 28
	v_mov_b32_e32 v2, 0
	s_mov_b32 s56, 0
	v_mov_b32_e32 v6, v14
	v_mov_b32_e32 v0, 0
	v_mov_b32_e32 v4, 0
.LBB2_89:                               ; =>This Inner Loop Header: Depth=1
	s_load_dwordx8 s[36:43], s[62:63], 0x0
	s_load_dwordx4 s[0:3], s[62:63], 0x20
	s_load_dwordx4 s[52:55], s[62:63], 0xe0
	s_load_dwordx8 s[44:51], s[62:63], 0xc0
	s_add_i32 s56, s56, 4
	s_waitcnt lgkmcnt(0)
	v_mul_hi_u32 v1, s37, v6
	v_add_u32_e32 v1, v6, v1
	v_lshrrev_b32_e32 v1, s38, v1
	v_mul_hi_u32 v5, s40, v1
	v_add_u32_e32 v5, v1, v5
	v_lshrrev_b32_e32 v5, s41, v5
	v_mul_lo_u32 v3, v1, s36
	v_mul_lo_u32 v8, v5, s39
	v_mul_hi_u32 v9, s43, v5
	v_sub_u32_e32 v3, v6, v3
	v_sub_u32_e32 v1, v1, v8
	v_add_u32_e32 v8, v5, v9
	v_mul_lo_u32 v6, v3, s44
	v_mul_lo_u32 v7, v3, s46
	;; [unrolled: 1-line block ×6, first 2 shown]
	v_lshrrev_b32_e32 v8, s0, v8
	v_add3_u32 v0, v3, v0, v1
	v_add3_u32 v1, v7, v4, v10
	v_mul_hi_u32 v4, s2, v8
	v_add_u32_e32 v4, v8, v4
	v_add3_u32 v2, v6, v2, v9
	v_lshrrev_b32_e32 v6, s3, v4
	v_mul_lo_u32 v3, v8, s42
	v_mul_lo_u32 v4, v6, s1
	s_add_u32 s62, s62, 48
	v_sub_u32_e32 v3, v5, v3
	v_sub_u32_e32 v4, v8, v4
	s_addc_u32 s63, s63, 0
	v_mul_lo_u32 v5, v3, s50
	v_mul_lo_u32 v7, v3, s51
	;; [unrolled: 1-line block ×6, first 2 shown]
	s_cmp_eq_u32 s20, s56
	v_add3_u32 v2, v5, v2, v8
	v_add3_u32 v4, v3, v1, v4
	;; [unrolled: 1-line block ×3, first 2 shown]
	s_cbranch_scc0 .LBB2_89
; %bb.90:
	v_mov_b32_e32 v1, v4
	s_and_b32 s2, s69, 3
	s_cmp_eq_u32 s2, 0
	s_cbranch_scc0 .LBB2_93
	s_branch .LBB2_95
.LBB2_91:
                                        ; implicit-def: $vgpr4
                                        ; implicit-def: $vgpr0
                                        ; implicit-def: $vgpr2
	s_branch .LBB2_96
.LBB2_92:
	v_mov_b32_e32 v0, 0
	s_mov_b32 s20, 0
	v_mov_b32_e32 v1, v0
                                        ; implicit-def: $vgpr4
	v_mov_b32_e32 v6, v14
	v_mov_b32_e32 v2, v0
	s_and_b32 s2, s69, 3
	s_cmp_eq_u32 s2, 0
	s_cbranch_scc1 .LBB2_95
.LBB2_93:
	s_mul_i32 s0, s20, 12
	s_add_u32 s0, s27, s0
	s_addc_u32 s1, s33, 0
	s_add_u32 s0, s0, 4
	s_addc_u32 s1, s1, 0
.LBB2_94:                               ; =>This Inner Loop Header: Depth=1
	s_load_dwordx2 s[36:37], s[0:1], 0x0
	s_load_dword s3, s[0:1], 0x8
	s_load_dwordx2 s[38:39], s[0:1], 0xc0
	s_load_dword s20, s[0:1], 0xc8
	v_mov_b32_e32 v4, v1
	s_waitcnt lgkmcnt(0)
	v_mul_hi_u32 v1, s37, v6
	v_add_u32_e32 v1, v6, v1
	v_lshrrev_b32_e32 v1, s3, v1
	v_mul_lo_u32 v3, v1, s36
	s_add_u32 s0, s0, 12
	v_sub_u32_e32 v7, v6, v3
	s_addc_u32 s1, s1, 0
	s_add_i32 s2, s2, -1
	v_mov_b32_e32 v6, v1
	v_mad_u64_u32 v[4:5], s[36:37], v7, s20, v[4:5]
	v_mad_u64_u32 v[0:1], s[36:37], v7, s39, v[0:1]
	s_cmp_lg_u32 s2, 0
	v_mad_u64_u32 v[2:3], s[36:37], v7, s38, v[2:3]
	v_mov_b32_e32 v1, v4
	s_cbranch_scc1 .LBB2_94
.LBB2_95:
	s_cbranch_execnz .LBB2_98
.LBB2_96:
	v_mul_hi_u32 v0, s22, v14
	v_add_u32_e32 v0, v14, v0
	v_lshrrev_b32_e32 v1, s23, v0
	v_mul_lo_u32 v0, v1, s21
	v_sub_u32_e32 v0, v14, v0
	v_mul_lo_u32 v2, v0, s28
	v_mul_lo_u32 v4, v0, s30
	s_andn2_b64 vcc, exec, s[60:61]
	v_mul_lo_u32 v0, v0, s29
	s_cbranch_vccnz .LBB2_98
; %bb.97:
	v_mul_hi_u32 v3, s25, v1
	v_add_u32_e32 v3, v1, v3
	v_lshrrev_b32_e32 v3, s26, v3
	v_mul_lo_u32 v3, v3, s24
	v_sub_u32_e32 v5, v1, v3
	v_mad_u64_u32 v[2:3], s[0:1], v5, s31, v[2:3]
	v_mad_u64_u32 v[0:1], s[0:1], v5, s34, v[0:1]
	;; [unrolled: 1-line block ×3, first 2 shown]
.LBB2_98:
	global_load_dwordx2 v[4:5], v4, s[8:9]
	v_mov_b64_e32 v[6:7], 0
	s_waitcnt vmcnt(0)
	v_cmp_lt_i64_e32 vcc, s[10:11], v[4:5]
	s_and_saveexec_b64 s[2:3], vcc
	s_cbranch_execz .LBB2_104
; %bb.99:
	v_mov_b32_e32 v1, s11
	v_subrev_co_u32_e32 v8, vcc, s10, v4
	v_mov_b32_e32 v10, 0
	s_nop 0
	v_subb_co_u32_e32 v9, vcc, v5, v1, vcc
	v_or_b32_e32 v11, s13, v9
	v_cmp_ne_u64_e32 vcc, 0, v[10:11]
                                        ; implicit-def: $vgpr6_vgpr7
	s_and_saveexec_b64 s[0:1], vcc
	s_xor_b64 s[8:9], exec, s[0:1]
	s_cbranch_execz .LBB2_101
; %bb.100:
	s_ashr_i32 s20, s13, 31
	s_add_u32 s0, s12, s20
	s_mov_b32 s21, s20
	s_addc_u32 s1, s13, s20
	s_xor_b64 s[22:23], s[0:1], s[20:21]
	v_cvt_f32_u32_e32 v1, s22
	v_cvt_f32_u32_e32 v3, s23
	s_sub_u32 s21, 0, s22
	s_subb_u32 s24, 0, s23
	v_ashrrev_i32_e32 v6, 31, v9
	v_fmamk_f32 v1, v3, 0x4f800000, v1
	v_rcp_f32_e32 v1, v1
	v_mov_b32_e32 v7, v6
	v_lshl_add_u64 v[8:9], v[8:9], 0, v[6:7]
	v_mov_b32_e32 v13, v10
	v_mul_f32_e32 v1, 0x5f7ffffc, v1
	v_mul_f32_e32 v3, 0x2f800000, v1
	v_trunc_f32_e32 v3, v3
	v_fmamk_f32 v1, v3, 0xcf800000, v1
	v_cvt_u32_f32_e32 v3, v3
	v_cvt_u32_f32_e32 v1, v1
	v_readfirstlane_b32 s25, v3
	v_readfirstlane_b32 s0, v1
	s_mul_i32 s1, s21, s25
	s_mul_hi_u32 s27, s21, s0
	s_mul_i32 s26, s24, s0
	s_add_i32 s1, s27, s1
	s_add_i32 s1, s1, s26
	s_mul_i32 s28, s21, s0
	s_mul_i32 s27, s0, s1
	s_mul_hi_u32 s29, s0, s28
	s_mul_hi_u32 s26, s0, s1
	s_add_u32 s27, s29, s27
	s_addc_u32 s26, 0, s26
	s_mul_hi_u32 s30, s25, s28
	s_mul_i32 s28, s25, s28
	s_add_u32 s27, s27, s28
	s_mul_hi_u32 s29, s25, s1
	s_addc_u32 s26, s26, s30
	s_addc_u32 s27, s29, 0
	s_mul_i32 s1, s25, s1
	s_add_u32 s1, s26, s1
	s_addc_u32 s26, 0, s27
	s_add_u32 s27, s0, s1
	s_cselect_b64 s[0:1], -1, 0
	s_cmp_lg_u64 s[0:1], 0
	s_addc_u32 s25, s25, s26
	s_mul_i32 s0, s21, s25
	s_mul_hi_u32 s1, s21, s27
	s_add_i32 s0, s1, s0
	s_mul_i32 s24, s24, s27
	s_add_i32 s0, s0, s24
	s_mul_i32 s21, s21, s27
	s_mul_hi_u32 s24, s25, s21
	s_mul_i32 s26, s25, s21
	s_mul_i32 s29, s27, s0
	s_mul_hi_u32 s21, s27, s21
	s_mul_hi_u32 s28, s27, s0
	s_add_u32 s21, s21, s29
	s_addc_u32 s28, 0, s28
	s_add_u32 s21, s21, s26
	s_mul_hi_u32 s1, s25, s0
	s_addc_u32 s21, s28, s24
	s_addc_u32 s1, s1, 0
	s_mul_i32 s0, s25, s0
	s_add_u32 s0, s21, s0
	s_addc_u32 s21, 0, s1
	s_add_u32 s24, s27, s0
	s_cselect_b64 s[0:1], -1, 0
	s_cmp_lg_u64 s[0:1], 0
	s_addc_u32 s21, s25, s21
	v_xor_b32_e32 v3, v8, v6
	v_xor_b32_e32 v1, v9, v6
	v_mad_u64_u32 v[8:9], s[0:1], v3, s21, 0
	v_mul_hi_u32 v12, v3, s24
	v_lshl_add_u64 v[8:9], v[12:13], 0, v[8:9]
	v_mad_u64_u32 v[14:15], s[0:1], v1, s24, 0
	v_add_co_u32_e32 v7, vcc, v8, v14
	v_mad_u64_u32 v[12:13], s[0:1], v1, s21, 0
	s_nop 0
	v_addc_co_u32_e32 v8, vcc, v9, v15, vcc
	v_mov_b32_e32 v9, v10
	s_nop 0
	v_addc_co_u32_e32 v13, vcc, 0, v13, vcc
	v_lshl_add_u64 v[8:9], v[8:9], 0, v[12:13]
	v_mul_lo_u32 v7, s23, v8
	v_mul_lo_u32 v12, s22, v9
	v_mad_u64_u32 v[10:11], s[0:1], s22, v8, 0
	v_add3_u32 v7, v11, v12, v7
	v_sub_u32_e32 v11, v1, v7
	v_mov_b32_e32 v12, s23
	v_sub_co_u32_e32 v3, vcc, v3, v10
	s_nop 1
	v_subb_co_u32_e64 v10, s[0:1], v11, v12, vcc
	v_subrev_co_u32_e64 v11, s[0:1], s22, v3
	v_subb_co_u32_e32 v1, vcc, v1, v7, vcc
	s_nop 0
	v_subbrev_co_u32_e64 v10, s[0:1], 0, v10, s[0:1]
	v_cmp_le_u32_e64 s[0:1], s23, v10
	v_cmp_le_u32_e32 vcc, s23, v1
	s_nop 0
	v_cndmask_b32_e64 v12, 0, -1, s[0:1]
	v_cmp_le_u32_e64 s[0:1], s22, v11
	v_cndmask_b32_e64 v7, 0, -1, vcc
	v_cmp_le_u32_e32 vcc, s22, v3
	v_cndmask_b32_e64 v11, 0, -1, s[0:1]
	v_cmp_eq_u32_e64 s[0:1], s23, v10
	v_cndmask_b32_e64 v3, 0, -1, vcc
	v_cmp_eq_u32_e32 vcc, s23, v1
	v_cndmask_b32_e64 v14, v12, v11, s[0:1]
	v_lshl_add_u64 v[10:11], v[8:9], 0, 2
	v_lshl_add_u64 v[12:13], v[8:9], 0, 1
	v_cmp_ne_u32_e64 s[0:1], 0, v14
	v_cndmask_b32_e32 v1, v7, v3, vcc
	v_cmp_ne_u32_e32 vcc, 0, v1
	v_cndmask_b32_e64 v3, v12, v10, s[0:1]
	v_cndmask_b32_e64 v11, v13, v11, s[0:1]
	v_cndmask_b32_e32 v3, v8, v3, vcc
	v_xor_b32_e32 v7, s20, v6
	v_cndmask_b32_e32 v1, v9, v11, vcc
	v_xor_b32_e32 v3, v3, v7
	v_xor_b32_e32 v1, v1, v7
	v_sub_co_u32_e32 v6, vcc, v3, v7
                                        ; implicit-def: $vgpr8
	s_nop 1
	v_subb_co_u32_e32 v7, vcc, v1, v7, vcc
.LBB2_101:
	s_andn2_saveexec_b64 s[0:1], s[8:9]
	s_cbranch_execz .LBB2_103
; %bb.102:
	v_cvt_f32_u32_e32 v1, s12
	s_sub_i32 s8, 0, s12
	v_rcp_iflag_f32_e32 v1, v1
	s_nop 0
	v_mul_f32_e32 v1, 0x4f7ffffe, v1
	v_cvt_u32_f32_e32 v1, v1
	v_mul_lo_u32 v3, s8, v1
	v_mul_hi_u32 v3, v1, v3
	v_add_u32_e32 v1, v1, v3
	v_mul_hi_u32 v1, v8, v1
	v_mul_lo_u32 v3, v1, s12
	v_sub_u32_e32 v3, v8, v3
	v_add_u32_e32 v6, 1, v1
	v_subrev_u32_e32 v7, s12, v3
	v_cmp_le_u32_e32 vcc, s12, v3
	s_nop 1
	v_cndmask_b32_e32 v3, v3, v7, vcc
	v_cndmask_b32_e32 v1, v1, v6, vcc
	v_add_u32_e32 v6, 1, v1
	v_cmp_le_u32_e32 vcc, s12, v3
	v_mov_b32_e32 v7, 0
	s_nop 0
	v_cndmask_b32_e32 v6, v1, v6, vcc
.LBB2_103:
	s_or_b64 exec, exec, s[0:1]
.LBB2_104:
	s_or_b64 exec, exec, s[2:3]
	v_or_b32_e32 v9, s13, v5
	v_mov_b32_e32 v8, 0
	v_cmp_ne_u64_e32 vcc, 0, v[8:9]
                                        ; implicit-def: $vgpr10_vgpr11
	s_and_saveexec_b64 s[0:1], vcc
	s_xor_b64 s[2:3], exec, s[0:1]
	s_cbranch_execz .LBB2_106
; %bb.105:
	s_ashr_i32 s8, s13, 31
	s_add_u32 s0, s12, s8
	s_mov_b32 s9, s8
	s_addc_u32 s1, s13, s8
	s_xor_b64 s[20:21], s[0:1], s[8:9]
	v_cvt_f32_u32_e32 v1, s20
	v_cvt_f32_u32_e32 v3, s21
	s_sub_u32 s9, 0, s20
	s_subb_u32 s22, 0, s21
	v_ashrrev_i32_e32 v10, 31, v5
	v_fmamk_f32 v1, v3, 0x4f800000, v1
	v_rcp_f32_e32 v1, v1
	v_mov_b32_e32 v11, v10
	v_lshl_add_u64 v[12:13], v[4:5], 0, v[10:11]
	v_mov_b32_e32 v15, v8
	v_mul_f32_e32 v1, 0x5f7ffffc, v1
	v_mul_f32_e32 v3, 0x2f800000, v1
	v_trunc_f32_e32 v3, v3
	v_fmamk_f32 v1, v3, 0xcf800000, v1
	v_cvt_u32_f32_e32 v3, v3
	v_cvt_u32_f32_e32 v1, v1
	v_readfirstlane_b32 s23, v3
	v_readfirstlane_b32 s0, v1
	s_mul_i32 s1, s9, s23
	s_mul_hi_u32 s25, s9, s0
	s_mul_i32 s24, s22, s0
	s_add_i32 s1, s25, s1
	s_add_i32 s1, s1, s24
	s_mul_i32 s26, s9, s0
	s_mul_i32 s25, s0, s1
	s_mul_hi_u32 s27, s0, s26
	s_mul_hi_u32 s24, s0, s1
	s_add_u32 s25, s27, s25
	s_addc_u32 s24, 0, s24
	s_mul_hi_u32 s28, s23, s26
	s_mul_i32 s26, s23, s26
	s_add_u32 s25, s25, s26
	s_mul_hi_u32 s27, s23, s1
	s_addc_u32 s24, s24, s28
	s_addc_u32 s25, s27, 0
	s_mul_i32 s1, s23, s1
	s_add_u32 s1, s24, s1
	s_addc_u32 s24, 0, s25
	s_add_u32 s25, s0, s1
	s_cselect_b64 s[0:1], -1, 0
	s_cmp_lg_u64 s[0:1], 0
	s_addc_u32 s23, s23, s24
	s_mul_i32 s0, s9, s23
	s_mul_hi_u32 s1, s9, s25
	s_add_i32 s0, s1, s0
	s_mul_i32 s22, s22, s25
	s_add_i32 s0, s0, s22
	s_mul_i32 s9, s9, s25
	s_mul_hi_u32 s22, s23, s9
	s_mul_i32 s24, s23, s9
	s_mul_i32 s27, s25, s0
	s_mul_hi_u32 s9, s25, s9
	s_mul_hi_u32 s26, s25, s0
	s_add_u32 s9, s9, s27
	s_addc_u32 s26, 0, s26
	s_add_u32 s9, s9, s24
	s_mul_hi_u32 s1, s23, s0
	s_addc_u32 s9, s26, s22
	s_addc_u32 s1, s1, 0
	s_mul_i32 s0, s23, s0
	s_add_u32 s0, s9, s0
	s_addc_u32 s9, 0, s1
	s_add_u32 s22, s25, s0
	s_cselect_b64 s[0:1], -1, 0
	s_cmp_lg_u64 s[0:1], 0
	s_addc_u32 s9, s23, s9
	v_xor_b32_e32 v3, v12, v10
	v_xor_b32_e32 v1, v13, v10
	v_mad_u64_u32 v[12:13], s[0:1], v3, s9, 0
	v_mul_hi_u32 v14, v3, s22
	v_lshl_add_u64 v[12:13], v[14:15], 0, v[12:13]
	v_mad_u64_u32 v[16:17], s[0:1], v1, s22, 0
	v_add_co_u32_e32 v9, vcc, v12, v16
	v_mad_u64_u32 v[14:15], s[0:1], v1, s9, 0
	s_nop 0
	v_addc_co_u32_e32 v12, vcc, v13, v17, vcc
	v_mov_b32_e32 v13, v8
	s_nop 0
	v_addc_co_u32_e32 v15, vcc, 0, v15, vcc
	v_lshl_add_u64 v[8:9], v[12:13], 0, v[14:15]
	v_mul_lo_u32 v11, s21, v8
	v_mul_lo_u32 v14, s20, v9
	v_mad_u64_u32 v[12:13], s[0:1], s20, v8, 0
	v_add3_u32 v11, v13, v14, v11
	v_sub_u32_e32 v13, v1, v11
	v_mov_b32_e32 v14, s21
	v_sub_co_u32_e32 v3, vcc, v3, v12
	s_nop 1
	v_subb_co_u32_e64 v12, s[0:1], v13, v14, vcc
	v_subrev_co_u32_e64 v13, s[0:1], s20, v3
	v_subb_co_u32_e32 v1, vcc, v1, v11, vcc
	s_nop 0
	v_subbrev_co_u32_e64 v12, s[0:1], 0, v12, s[0:1]
	v_cmp_le_u32_e64 s[0:1], s21, v12
	v_cmp_le_u32_e32 vcc, s21, v1
	s_nop 0
	v_cndmask_b32_e64 v14, 0, -1, s[0:1]
	v_cmp_le_u32_e64 s[0:1], s20, v13
	v_cndmask_b32_e64 v11, 0, -1, vcc
	v_cmp_le_u32_e32 vcc, s20, v3
	v_cndmask_b32_e64 v13, 0, -1, s[0:1]
	v_cmp_eq_u32_e64 s[0:1], s21, v12
	v_cndmask_b32_e64 v3, 0, -1, vcc
	v_cmp_eq_u32_e32 vcc, s21, v1
	v_cndmask_b32_e64 v16, v14, v13, s[0:1]
	v_lshl_add_u64 v[12:13], v[8:9], 0, 2
	v_lshl_add_u64 v[14:15], v[8:9], 0, 1
	v_cmp_ne_u32_e64 s[0:1], 0, v16
	v_cndmask_b32_e32 v1, v11, v3, vcc
	v_cmp_ne_u32_e32 vcc, 0, v1
	v_cndmask_b32_e64 v3, v14, v12, s[0:1]
	v_cndmask_b32_e64 v13, v15, v13, s[0:1]
	v_cndmask_b32_e32 v3, v8, v3, vcc
	v_xor_b32_e32 v8, s8, v10
	v_cndmask_b32_e32 v1, v9, v13, vcc
	v_xor_b32_e32 v3, v3, v8
	v_xor_b32_e32 v1, v1, v8
	v_sub_co_u32_e32 v10, vcc, v3, v8
	s_nop 1
	v_subb_co_u32_e32 v11, vcc, v1, v8, vcc
.LBB2_106:
	s_andn2_saveexec_b64 s[0:1], s[2:3]
	s_cbranch_execz .LBB2_108
; %bb.107:
	v_cvt_f32_u32_e32 v1, s12
	s_sub_i32 s2, 0, s12
	v_mov_b32_e32 v11, 0
	v_rcp_iflag_f32_e32 v1, v1
	s_nop 0
	v_mul_f32_e32 v1, 0x4f7ffffe, v1
	v_cvt_u32_f32_e32 v1, v1
	v_mul_lo_u32 v3, s2, v1
	v_mul_hi_u32 v3, v1, v3
	v_add_u32_e32 v1, v1, v3
	v_mul_hi_u32 v1, v4, v1
	v_mul_lo_u32 v3, v1, s12
	v_sub_u32_e32 v3, v4, v3
	v_add_u32_e32 v8, 1, v1
	v_subrev_u32_e32 v9, s12, v3
	v_cmp_le_u32_e32 vcc, s12, v3
	s_nop 1
	v_cndmask_b32_e32 v3, v3, v9, vcc
	v_cndmask_b32_e32 v1, v1, v8, vcc
	v_add_u32_e32 v8, 1, v1
	v_cmp_le_u32_e32 vcc, s12, v3
	s_nop 1
	v_cndmask_b32_e32 v10, v1, v8, vcc
.LBB2_108:
	s_or_b64 exec, exec, s[0:1]
	v_mul_lo_u32 v1, v7, s12
	v_mul_lo_u32 v3, v6, s13
	v_mad_u64_u32 v[8:9], s[0:1], v6, s12, 0
	v_add3_u32 v9, v9, v3, v1
	v_cmp_gt_i64_e32 vcc, v[8:9], v[4:5]
	v_mov_b64_e32 v[8:9], s[10:11]
	v_mad_u64_u32 v[8:9], s[0:1], v6, s12, v[8:9]
	v_add3_u32 v9, v1, v9, v3
	v_cmp_ge_i64_e64 s[0:1], v[4:5], v[8:9]
	s_or_b64 s[0:1], vcc, s[0:1]
	v_mov_b32_e32 v1, s15
	v_cndmask_b32_e64 v8, 0, 1, s[0:1]
	s_mov_b32 s0, 0
	v_mov_b32_e32 v9, s0
	v_cmp_gt_i64_e32 vcc, s[14:15], v[10:11]
	v_lshl_add_u64 v[12:13], v[6:7], 0, v[8:9]
	s_nop 0
	v_cndmask_b32_e32 v7, v1, v11, vcc
	v_mov_b32_e32 v1, s14
	v_cndmask_b32_e32 v6, v1, v10, vcc
	v_cmp_le_i64_e32 vcc, v[12:13], v[6:7]
	s_and_b64 exec, exec, vcc
	s_cbranch_execz .LBB2_111
; %bb.109:
	global_load_dword v10, v2, s[4:5]
	v_mul_lo_u32 v11, s13, v12
	v_mul_lo_u32 v16, s12, v13
	v_mad_u64_u32 v[14:15], s[0:1], s12, v12, 0
	v_add3_u32 v11, v15, v16, v11
	v_sub_co_u32_e32 v4, vcc, v4, v14
	v_mov_b32_e32 v3, 0
	s_nop 0
	v_subb_co_u32_e32 v5, vcc, v5, v11, vcc
	v_mul_lo_u32 v11, s19, v4
	v_mul_lo_u32 v14, s18, v5
	v_mad_u64_u32 v[4:5], s[0:1], s18, v4, 0
	v_lshl_add_u64 v[8:9], s[4:5], 0, v[2:3]
	v_mov_b32_e32 v1, v3
	v_lshl_add_u64 v[2:3], v[12:13], 0, -1
	v_add3_u32 v5, v5, v14, v11
	v_mul_lo_u32 v11, s17, v12
	v_mul_lo_u32 v14, s16, v13
	v_mad_u64_u32 v[12:13], s[0:1], s16, v12, 0
	s_mul_i32 s2, s12, s19
	s_mul_hi_u32 s3, s12, s18
	v_add3_u32 v13, v13, v14, v11
	s_add_i32 s2, s3, s2
	s_mul_i32 s3, s13, s18
	v_lshlrev_b64 v[12:13], 2, v[12:13]
	s_add_i32 s3, s2, s3
	s_mul_i32 s2, s12, s18
	v_lshl_add_u64 v[4:5], v[4:5], 2, v[12:13]
	s_lshl_b64 s[0:1], s[16:17], 2
	s_lshl_b64 s[2:3], s[2:3], 2
	v_lshl_add_u64 v[0:1], v[4:5], 0, v[0:1]
	s_sub_u32 s0, s0, s2
	v_lshl_add_u64 v[0:1], s[6:7], 0, v[0:1]
	s_subb_u32 s1, s1, s3
	s_mov_b64 s[2:3], 0
.LBB2_110:                              ; =>This Inner Loop Header: Depth=1
	global_load_dword v4, v[0:1], off
	v_lshl_add_u64 v[2:3], v[2:3], 0, 1
	v_cmp_ge_i64_e32 vcc, v[2:3], v[6:7]
	v_lshl_add_u64 v[0:1], v[0:1], 0, s[0:1]
	s_or_b64 s[2:3], vcc, s[2:3]
	s_waitcnt vmcnt(0)
	v_add_u32_e32 v10, v4, v10
	global_store_dword v[8:9], v10, off
	s_andn2_b64 exec, exec, s[2:3]
	s_cbranch_execnz .LBB2_110
.LBB2_111:
	s_endpgm
	.section	.rodata,"a",@progbits
	.p2align	6, 0x0
	.amdhsa_kernel _ZN2at6native12_GLOBAL__N_135_unfold_backward_elementwise_kernelILi256ELi4EZNS1_32_unfold_backward_internal_kernelIiEEvRNS_14TensorIteratorEllllllEUliE_EEviT1_
		.amdhsa_group_segment_fixed_size 0
		.amdhsa_private_segment_fixed_size 0
		.amdhsa_kernarg_size 464
		.amdhsa_user_sgpr_count 2
		.amdhsa_user_sgpr_dispatch_ptr 0
		.amdhsa_user_sgpr_queue_ptr 0
		.amdhsa_user_sgpr_kernarg_segment_ptr 1
		.amdhsa_user_sgpr_dispatch_id 0
		.amdhsa_user_sgpr_kernarg_preload_length 0
		.amdhsa_user_sgpr_kernarg_preload_offset 0
		.amdhsa_user_sgpr_private_segment_size 0
		.amdhsa_uses_dynamic_stack 0
		.amdhsa_enable_private_segment 0
		.amdhsa_system_sgpr_workgroup_id_x 1
		.amdhsa_system_sgpr_workgroup_id_y 0
		.amdhsa_system_sgpr_workgroup_id_z 0
		.amdhsa_system_sgpr_workgroup_info 0
		.amdhsa_system_vgpr_workitem_id 0
		.amdhsa_next_free_vgpr 20
		.amdhsa_next_free_sgpr 73
		.amdhsa_accum_offset 20
		.amdhsa_reserve_vcc 1
		.amdhsa_float_round_mode_32 0
		.amdhsa_float_round_mode_16_64 0
		.amdhsa_float_denorm_mode_32 3
		.amdhsa_float_denorm_mode_16_64 3
		.amdhsa_dx10_clamp 1
		.amdhsa_ieee_mode 1
		.amdhsa_fp16_overflow 0
		.amdhsa_tg_split 0
		.amdhsa_exception_fp_ieee_invalid_op 0
		.amdhsa_exception_fp_denorm_src 0
		.amdhsa_exception_fp_ieee_div_zero 0
		.amdhsa_exception_fp_ieee_overflow 0
		.amdhsa_exception_fp_ieee_underflow 0
		.amdhsa_exception_fp_ieee_inexact 0
		.amdhsa_exception_int_div_zero 0
	.end_amdhsa_kernel
	.section	.text._ZN2at6native12_GLOBAL__N_135_unfold_backward_elementwise_kernelILi256ELi4EZNS1_32_unfold_backward_internal_kernelIiEEvRNS_14TensorIteratorEllllllEUliE_EEviT1_,"axG",@progbits,_ZN2at6native12_GLOBAL__N_135_unfold_backward_elementwise_kernelILi256ELi4EZNS1_32_unfold_backward_internal_kernelIiEEvRNS_14TensorIteratorEllllllEUliE_EEviT1_,comdat
.Lfunc_end2:
	.size	_ZN2at6native12_GLOBAL__N_135_unfold_backward_elementwise_kernelILi256ELi4EZNS1_32_unfold_backward_internal_kernelIiEEvRNS_14TensorIteratorEllllllEUliE_EEviT1_, .Lfunc_end2-_ZN2at6native12_GLOBAL__N_135_unfold_backward_elementwise_kernelILi256ELi4EZNS1_32_unfold_backward_internal_kernelIiEEvRNS_14TensorIteratorEllllllEUliE_EEviT1_
                                        ; -- End function
	.set _ZN2at6native12_GLOBAL__N_135_unfold_backward_elementwise_kernelILi256ELi4EZNS1_32_unfold_backward_internal_kernelIiEEvRNS_14TensorIteratorEllllllEUliE_EEviT1_.num_vgpr, 20
	.set _ZN2at6native12_GLOBAL__N_135_unfold_backward_elementwise_kernelILi256ELi4EZNS1_32_unfold_backward_internal_kernelIiEEvRNS_14TensorIteratorEllllllEUliE_EEviT1_.num_agpr, 0
	.set _ZN2at6native12_GLOBAL__N_135_unfold_backward_elementwise_kernelILi256ELi4EZNS1_32_unfold_backward_internal_kernelIiEEvRNS_14TensorIteratorEllllllEUliE_EEviT1_.numbered_sgpr, 73
	.set _ZN2at6native12_GLOBAL__N_135_unfold_backward_elementwise_kernelILi256ELi4EZNS1_32_unfold_backward_internal_kernelIiEEvRNS_14TensorIteratorEllllllEUliE_EEviT1_.num_named_barrier, 0
	.set _ZN2at6native12_GLOBAL__N_135_unfold_backward_elementwise_kernelILi256ELi4EZNS1_32_unfold_backward_internal_kernelIiEEvRNS_14TensorIteratorEllllllEUliE_EEviT1_.private_seg_size, 0
	.set _ZN2at6native12_GLOBAL__N_135_unfold_backward_elementwise_kernelILi256ELi4EZNS1_32_unfold_backward_internal_kernelIiEEvRNS_14TensorIteratorEllllllEUliE_EEviT1_.uses_vcc, 1
	.set _ZN2at6native12_GLOBAL__N_135_unfold_backward_elementwise_kernelILi256ELi4EZNS1_32_unfold_backward_internal_kernelIiEEvRNS_14TensorIteratorEllllllEUliE_EEviT1_.uses_flat_scratch, 0
	.set _ZN2at6native12_GLOBAL__N_135_unfold_backward_elementwise_kernelILi256ELi4EZNS1_32_unfold_backward_internal_kernelIiEEvRNS_14TensorIteratorEllllllEUliE_EEviT1_.has_dyn_sized_stack, 0
	.set _ZN2at6native12_GLOBAL__N_135_unfold_backward_elementwise_kernelILi256ELi4EZNS1_32_unfold_backward_internal_kernelIiEEvRNS_14TensorIteratorEllllllEUliE_EEviT1_.has_recursion, 0
	.set _ZN2at6native12_GLOBAL__N_135_unfold_backward_elementwise_kernelILi256ELi4EZNS1_32_unfold_backward_internal_kernelIiEEvRNS_14TensorIteratorEllllllEUliE_EEviT1_.has_indirect_call, 0
	.section	.AMDGPU.csdata,"",@progbits
; Kernel info:
; codeLenInByte = 11028
; TotalNumSgprs: 79
; NumVgprs: 20
; NumAgprs: 0
; TotalNumVgprs: 20
; ScratchSize: 0
; MemoryBound: 0
; FloatMode: 240
; IeeeMode: 1
; LDSByteSize: 0 bytes/workgroup (compile time only)
; SGPRBlocks: 9
; VGPRBlocks: 2
; NumSGPRsForWavesPerEU: 79
; NumVGPRsForWavesPerEU: 20
; AccumOffset: 20
; Occupancy: 8
; WaveLimiterHint : 1
; COMPUTE_PGM_RSRC2:SCRATCH_EN: 0
; COMPUTE_PGM_RSRC2:USER_SGPR: 2
; COMPUTE_PGM_RSRC2:TRAP_HANDLER: 0
; COMPUTE_PGM_RSRC2:TGID_X_EN: 1
; COMPUTE_PGM_RSRC2:TGID_Y_EN: 0
; COMPUTE_PGM_RSRC2:TGID_Z_EN: 0
; COMPUTE_PGM_RSRC2:TIDIG_COMP_CNT: 0
; COMPUTE_PGM_RSRC3_GFX90A:ACCUM_OFFSET: 4
; COMPUTE_PGM_RSRC3_GFX90A:TG_SPLIT: 0
	.section	.text._ZN2at6native12_GLOBAL__N_135_unfold_backward_elementwise_kernelILi256ELi4EZNS1_32_unfold_backward_internal_kernelIlEEvRNS_14TensorIteratorEllllllEUliE_EEviT1_,"axG",@progbits,_ZN2at6native12_GLOBAL__N_135_unfold_backward_elementwise_kernelILi256ELi4EZNS1_32_unfold_backward_internal_kernelIlEEvRNS_14TensorIteratorEllllllEUliE_EEviT1_,comdat
	.globl	_ZN2at6native12_GLOBAL__N_135_unfold_backward_elementwise_kernelILi256ELi4EZNS1_32_unfold_backward_internal_kernelIlEEvRNS_14TensorIteratorEllllllEUliE_EEviT1_ ; -- Begin function _ZN2at6native12_GLOBAL__N_135_unfold_backward_elementwise_kernelILi256ELi4EZNS1_32_unfold_backward_internal_kernelIlEEvRNS_14TensorIteratorEllllllEUliE_EEviT1_
	.p2align	8
	.type	_ZN2at6native12_GLOBAL__N_135_unfold_backward_elementwise_kernelILi256ELi4EZNS1_32_unfold_backward_internal_kernelIlEEvRNS_14TensorIteratorEllllllEUliE_EEviT1_,@function
_ZN2at6native12_GLOBAL__N_135_unfold_backward_elementwise_kernelILi256ELi4EZNS1_32_unfold_backward_internal_kernelIlEEvRNS_14TensorIteratorEllllllEUliE_EEviT1_: ; @_ZN2at6native12_GLOBAL__N_135_unfold_backward_elementwise_kernelILi256ELi4EZNS1_32_unfold_backward_internal_kernelIlEEvRNS_14TensorIteratorEllllllEUliE_EEviT1_
; %bb.0:
	s_load_dword s70, s[0:1], 0x0
	s_load_dwordx8 s[20:27], s[0:1], 0x8
	v_lshl_or_b32 v14, s2, 10, v0
	s_waitcnt lgkmcnt(0)
	s_add_u32 s27, s0, 8
	s_load_dwordx16 s[4:19], s[0:1], 0x190
	s_load_dwordx4 s[28:31], s[0:1], 0xcc
	s_load_dwordx2 s[34:35], s[0:1], 0xdc
	s_addc_u32 s33, s1, 0
	v_sub_co_u32_e64 v0, s[2:3], s20, 1
	s_nop 0
	v_readfirstlane_b32 s68, v0
	s_xor_b64 s[64:65], s[2:3], -1
	s_or_b32 s62, s0, 12
	s_min_u32 s69, s68, 15
	s_mov_b32 s63, s1
	s_cmp_gt_u32 s20, 1
	v_cmp_lt_u32_e64 s[0:1], 1, v0
	s_cselect_b64 s[60:61], -1, 0
	s_waitcnt lgkmcnt(0)
	s_add_u32 s14, s14, -1
	v_cndmask_b32_e64 v0, 0, 1, s[0:1]
	s_mov_b64 s[2:3], -1
	s_addc_u32 s15, s15, -1
	v_cmp_gt_i32_e32 vcc, s70, v14
	v_cmp_ne_u32_e64 s[0:1], 1, v0
	s_and_saveexec_b64 s[66:67], vcc
	s_cbranch_execnz .LBB3_4
; %bb.1:
	s_or_b64 exec, exec, s[66:67]
	v_cmp_gt_i32_e32 vcc, s70, v14
	s_and_saveexec_b64 s[66:67], vcc
	s_cbranch_execnz .LBB3_31
.LBB3_2:
	s_or_b64 exec, exec, s[66:67]
	v_cmp_gt_i32_e32 vcc, s70, v14
	s_and_saveexec_b64 s[66:67], vcc
	s_cbranch_execnz .LBB3_58
.LBB3_3:
	s_or_b64 exec, exec, s[66:67]
	v_cmp_gt_i32_e32 vcc, s70, v14
	s_and_saveexec_b64 s[2:3], vcc
	s_cbranch_execnz .LBB3_85
	s_branch .LBB3_111
.LBB3_4:
	s_and_b64 vcc, exec, s[0:1]
                                        ; implicit-def: $vgpr4
                                        ; implicit-def: $vgpr0
                                        ; implicit-def: $vgpr2
	s_cbranch_vccnz .LBB3_14
; %bb.5:
	v_mov_b32_e32 v4, 0
	s_andn2_b64 vcc, exec, s[64:65]
	v_mov_b32_e32 v0, 0
	v_mov_b32_e32 v2, 0
	s_cbranch_vccnz .LBB3_13
; %bb.6:
	s_add_i32 s71, s69, 1
	s_cmp_eq_u32 s68, 2
	s_cbranch_scc1 .LBB3_10
; %bb.7:
	s_and_b32 s20, s71, 28
	v_mov_b32_e32 v2, 0
	s_mov_b32 s72, 0
	s_mov_b64 s[2:3], s[62:63]
	v_mov_b32_e32 v6, v14
	v_mov_b32_e32 v0, 0
	;; [unrolled: 1-line block ×3, first 2 shown]
.LBB3_8:                                ; =>This Inner Loop Header: Depth=1
	s_load_dwordx8 s[36:43], s[2:3], 0x0
	s_load_dwordx4 s[52:55], s[2:3], 0x20
	s_load_dwordx4 s[56:59], s[2:3], 0xe0
	s_load_dwordx8 s[44:51], s[2:3], 0xc0
	s_add_i32 s72, s72, 4
	s_waitcnt lgkmcnt(0)
	v_mul_hi_u32 v1, s37, v6
	v_add_u32_e32 v1, v6, v1
	v_lshrrev_b32_e32 v1, s38, v1
	v_mul_hi_u32 v5, s40, v1
	v_add_u32_e32 v5, v1, v5
	v_lshrrev_b32_e32 v5, s41, v5
	v_mul_lo_u32 v3, v1, s36
	v_mul_lo_u32 v8, v5, s39
	v_mul_hi_u32 v9, s43, v5
	v_sub_u32_e32 v3, v6, v3
	v_sub_u32_e32 v1, v1, v8
	v_add_u32_e32 v8, v5, v9
	v_mul_lo_u32 v6, v3, s44
	v_mul_lo_u32 v7, v3, s46
	v_mul_lo_u32 v3, v3, s45
	v_mul_lo_u32 v9, v1, s47
	v_mul_lo_u32 v10, v1, s49
	v_mul_lo_u32 v1, v1, s48
	v_lshrrev_b32_e32 v8, s52, v8
	v_add3_u32 v0, v3, v0, v1
	v_add3_u32 v1, v7, v4, v10
	v_mul_hi_u32 v4, s54, v8
	v_add_u32_e32 v4, v8, v4
	v_add3_u32 v2, v6, v2, v9
	v_lshrrev_b32_e32 v6, s55, v4
	v_mul_lo_u32 v3, v8, s42
	v_mul_lo_u32 v4, v6, s53
	s_add_u32 s2, s2, 48
	v_sub_u32_e32 v3, v5, v3
	v_sub_u32_e32 v4, v8, v4
	s_addc_u32 s3, s3, 0
	v_mul_lo_u32 v5, v3, s50
	v_mul_lo_u32 v7, v3, s51
	v_mul_lo_u32 v3, v3, s56
	v_mul_lo_u32 v8, v4, s57
	v_mul_lo_u32 v9, v4, s58
	v_mul_lo_u32 v4, v4, s59
	s_cmp_lg_u32 s20, s72
	v_add3_u32 v2, v5, v2, v8
	v_add3_u32 v4, v3, v1, v4
	v_add3_u32 v0, v7, v0, v9
	s_cbranch_scc1 .LBB3_8
; %bb.9:
	v_mov_b32_e32 v1, v4
	s_and_b32 s36, s71, 3
	s_cmp_eq_u32 s36, 0
	s_cbranch_scc0 .LBB3_11
	s_branch .LBB3_13
.LBB3_10:
	v_mov_b32_e32 v0, 0
	s_mov_b32 s20, 0
	v_mov_b32_e32 v1, v0
                                        ; implicit-def: $vgpr4
	v_mov_b32_e32 v6, v14
	v_mov_b32_e32 v2, v0
	s_and_b32 s36, s71, 3
	s_cmp_eq_u32 s36, 0
	s_cbranch_scc1 .LBB3_13
.LBB3_11:
	s_mul_i32 s2, s20, 12
	s_add_u32 s2, s27, s2
	s_addc_u32 s3, s33, 0
	s_add_u32 s2, s2, 4
	s_addc_u32 s3, s3, 0
.LBB3_12:                               ; =>This Inner Loop Header: Depth=1
	s_load_dwordx2 s[38:39], s[2:3], 0x0
	s_load_dword s20, s[2:3], 0x8
	s_load_dwordx2 s[40:41], s[2:3], 0xc0
	s_load_dword s37, s[2:3], 0xc8
	v_mov_b32_e32 v4, v1
	s_waitcnt lgkmcnt(0)
	v_mul_hi_u32 v1, s39, v6
	v_add_u32_e32 v1, v6, v1
	v_lshrrev_b32_e32 v1, s20, v1
	v_mul_lo_u32 v3, v1, s38
	s_add_u32 s2, s2, 12
	v_sub_u32_e32 v7, v6, v3
	s_addc_u32 s3, s3, 0
	s_add_i32 s36, s36, -1
	v_mov_b32_e32 v6, v1
	v_mad_u64_u32 v[4:5], s[38:39], v7, s37, v[4:5]
	v_mad_u64_u32 v[0:1], s[38:39], v7, s41, v[0:1]
	s_cmp_lg_u32 s36, 0
	v_mad_u64_u32 v[2:3], s[38:39], v7, s40, v[2:3]
	v_mov_b32_e32 v1, v4
	s_cbranch_scc1 .LBB3_12
.LBB3_13:
	s_mov_b64 s[2:3], 0
.LBB3_14:
	s_andn2_b64 vcc, exec, s[2:3]
	s_cbranch_vccnz .LBB3_17
; %bb.15:
	v_mul_hi_u32 v0, s22, v14
	v_add_u32_e32 v0, v14, v0
	v_lshrrev_b32_e32 v1, s23, v0
	v_mul_lo_u32 v0, v1, s21
	v_sub_u32_e32 v0, v14, v0
	v_mul_lo_u32 v2, v0, s28
	v_mul_lo_u32 v4, v0, s30
	s_andn2_b64 vcc, exec, s[60:61]
	v_mul_lo_u32 v0, v0, s29
	s_cbranch_vccnz .LBB3_17
; %bb.16:
	v_mul_hi_u32 v3, s25, v1
	v_add_u32_e32 v3, v1, v3
	v_lshrrev_b32_e32 v3, s26, v3
	v_mul_lo_u32 v3, v3, s24
	v_sub_u32_e32 v5, v1, v3
	v_mad_u64_u32 v[2:3], s[2:3], v5, s31, v[2:3]
	v_mad_u64_u32 v[0:1], s[2:3], v5, s34, v[0:1]
	;; [unrolled: 1-line block ×3, first 2 shown]
.LBB3_17:
	global_load_dwordx2 v[4:5], v4, s[8:9]
	v_mov_b64_e32 v[6:7], 0
	s_waitcnt vmcnt(0)
	v_cmp_lt_i64_e32 vcc, s[10:11], v[4:5]
	s_and_saveexec_b64 s[36:37], vcc
	s_cbranch_execz .LBB3_23
; %bb.18:
	v_mov_b32_e32 v1, s11
	v_subrev_co_u32_e32 v8, vcc, s10, v4
	v_mov_b32_e32 v10, 0
	s_nop 0
	v_subb_co_u32_e32 v9, vcc, v5, v1, vcc
	v_or_b32_e32 v11, s13, v9
	v_cmp_ne_u64_e32 vcc, 0, v[10:11]
                                        ; implicit-def: $vgpr6_vgpr7
	s_and_saveexec_b64 s[2:3], vcc
	s_xor_b64 s[38:39], exec, s[2:3]
	s_cbranch_execz .LBB3_20
; %bb.19:
	s_ashr_i32 s40, s13, 31
	s_add_u32 s2, s12, s40
	s_mov_b32 s41, s40
	s_addc_u32 s3, s13, s40
	s_xor_b64 s[42:43], s[2:3], s[40:41]
	v_cvt_f32_u32_e32 v1, s42
	v_cvt_f32_u32_e32 v3, s43
	s_sub_u32 s20, 0, s42
	s_subb_u32 s41, 0, s43
	v_ashrrev_i32_e32 v6, 31, v9
	v_fmamk_f32 v1, v3, 0x4f800000, v1
	v_rcp_f32_e32 v1, v1
	v_mov_b32_e32 v7, v6
	v_lshl_add_u64 v[8:9], v[8:9], 0, v[6:7]
	v_mov_b32_e32 v13, v10
	v_mul_f32_e32 v1, 0x5f7ffffc, v1
	v_mul_f32_e32 v3, 0x2f800000, v1
	v_trunc_f32_e32 v3, v3
	v_fmamk_f32 v1, v3, 0xcf800000, v1
	v_cvt_u32_f32_e32 v3, v3
	v_cvt_u32_f32_e32 v1, v1
	v_readfirstlane_b32 s44, v3
	v_readfirstlane_b32 s2, v1
	s_mul_i32 s3, s20, s44
	s_mul_hi_u32 s46, s20, s2
	s_mul_i32 s45, s41, s2
	s_add_i32 s3, s46, s3
	s_add_i32 s3, s3, s45
	s_mul_i32 s47, s20, s2
	s_mul_i32 s46, s2, s3
	s_mul_hi_u32 s48, s2, s47
	s_mul_hi_u32 s45, s2, s3
	s_add_u32 s46, s48, s46
	s_addc_u32 s45, 0, s45
	s_mul_hi_u32 s49, s44, s47
	s_mul_i32 s47, s44, s47
	s_add_u32 s46, s46, s47
	s_mul_hi_u32 s48, s44, s3
	s_addc_u32 s45, s45, s49
	s_addc_u32 s46, s48, 0
	s_mul_i32 s3, s44, s3
	s_add_u32 s3, s45, s3
	s_addc_u32 s45, 0, s46
	s_add_u32 s46, s2, s3
	s_cselect_b64 s[2:3], -1, 0
	s_cmp_lg_u64 s[2:3], 0
	s_addc_u32 s44, s44, s45
	s_mul_i32 s2, s20, s44
	s_mul_hi_u32 s3, s20, s46
	s_add_i32 s2, s3, s2
	s_mul_i32 s41, s41, s46
	s_add_i32 s2, s2, s41
	s_mul_i32 s20, s20, s46
	s_mul_hi_u32 s41, s44, s20
	s_mul_i32 s45, s44, s20
	s_mul_i32 s48, s46, s2
	s_mul_hi_u32 s20, s46, s20
	s_mul_hi_u32 s47, s46, s2
	s_add_u32 s20, s20, s48
	s_addc_u32 s47, 0, s47
	s_add_u32 s20, s20, s45
	s_mul_hi_u32 s3, s44, s2
	s_addc_u32 s20, s47, s41
	s_addc_u32 s3, s3, 0
	s_mul_i32 s2, s44, s2
	s_add_u32 s2, s20, s2
	s_addc_u32 s20, 0, s3
	s_add_u32 s41, s46, s2
	s_cselect_b64 s[2:3], -1, 0
	s_cmp_lg_u64 s[2:3], 0
	s_addc_u32 s20, s44, s20
	v_xor_b32_e32 v3, v8, v6
	v_xor_b32_e32 v1, v9, v6
	v_mad_u64_u32 v[8:9], s[2:3], v3, s20, 0
	v_mul_hi_u32 v12, v3, s41
	v_lshl_add_u64 v[8:9], v[12:13], 0, v[8:9]
	v_mad_u64_u32 v[16:17], s[2:3], v1, s41, 0
	v_add_co_u32_e32 v7, vcc, v8, v16
	v_mad_u64_u32 v[12:13], s[2:3], v1, s20, 0
	s_nop 0
	v_addc_co_u32_e32 v8, vcc, v9, v17, vcc
	v_mov_b32_e32 v9, v10
	s_nop 0
	v_addc_co_u32_e32 v13, vcc, 0, v13, vcc
	v_lshl_add_u64 v[8:9], v[8:9], 0, v[12:13]
	v_mul_lo_u32 v7, s43, v8
	v_mul_lo_u32 v12, s42, v9
	v_mad_u64_u32 v[10:11], s[2:3], s42, v8, 0
	v_add3_u32 v7, v11, v12, v7
	v_sub_u32_e32 v11, v1, v7
	v_mov_b32_e32 v12, s43
	v_sub_co_u32_e32 v3, vcc, v3, v10
	s_nop 1
	v_subb_co_u32_e64 v10, s[2:3], v11, v12, vcc
	v_subrev_co_u32_e64 v11, s[2:3], s42, v3
	v_subb_co_u32_e32 v1, vcc, v1, v7, vcc
	s_nop 0
	v_subbrev_co_u32_e64 v10, s[2:3], 0, v10, s[2:3]
	v_cmp_le_u32_e64 s[2:3], s43, v10
	v_cmp_le_u32_e32 vcc, s43, v1
	s_nop 0
	v_cndmask_b32_e64 v12, 0, -1, s[2:3]
	v_cmp_le_u32_e64 s[2:3], s42, v11
	v_cndmask_b32_e64 v7, 0, -1, vcc
	v_cmp_le_u32_e32 vcc, s42, v3
	v_cndmask_b32_e64 v11, 0, -1, s[2:3]
	v_cmp_eq_u32_e64 s[2:3], s43, v10
	v_cndmask_b32_e64 v3, 0, -1, vcc
	v_cmp_eq_u32_e32 vcc, s43, v1
	v_cndmask_b32_e64 v15, v12, v11, s[2:3]
	v_lshl_add_u64 v[10:11], v[8:9], 0, 2
	v_lshl_add_u64 v[12:13], v[8:9], 0, 1
	v_cmp_ne_u32_e64 s[2:3], 0, v15
	v_cndmask_b32_e32 v1, v7, v3, vcc
	v_cmp_ne_u32_e32 vcc, 0, v1
	v_cndmask_b32_e64 v3, v12, v10, s[2:3]
	v_cndmask_b32_e64 v11, v13, v11, s[2:3]
	v_cndmask_b32_e32 v3, v8, v3, vcc
	v_xor_b32_e32 v7, s40, v6
	v_cndmask_b32_e32 v1, v9, v11, vcc
	v_xor_b32_e32 v3, v3, v7
	v_xor_b32_e32 v1, v1, v7
	v_sub_co_u32_e32 v6, vcc, v3, v7
                                        ; implicit-def: $vgpr8
	s_nop 1
	v_subb_co_u32_e32 v7, vcc, v1, v7, vcc
.LBB3_20:
	s_andn2_saveexec_b64 s[2:3], s[38:39]
	s_cbranch_execz .LBB3_22
; %bb.21:
	v_cvt_f32_u32_e32 v1, s12
	s_sub_i32 s20, 0, s12
	v_rcp_iflag_f32_e32 v1, v1
	s_nop 0
	v_mul_f32_e32 v1, 0x4f7ffffe, v1
	v_cvt_u32_f32_e32 v1, v1
	v_mul_lo_u32 v3, s20, v1
	v_mul_hi_u32 v3, v1, v3
	v_add_u32_e32 v1, v1, v3
	v_mul_hi_u32 v1, v8, v1
	v_mul_lo_u32 v3, v1, s12
	v_sub_u32_e32 v3, v8, v3
	v_add_u32_e32 v6, 1, v1
	v_subrev_u32_e32 v7, s12, v3
	v_cmp_le_u32_e32 vcc, s12, v3
	s_nop 1
	v_cndmask_b32_e32 v3, v3, v7, vcc
	v_cndmask_b32_e32 v1, v1, v6, vcc
	v_add_u32_e32 v6, 1, v1
	v_cmp_le_u32_e32 vcc, s12, v3
	v_mov_b32_e32 v7, 0
	s_nop 0
	v_cndmask_b32_e32 v6, v1, v6, vcc
.LBB3_22:
	s_or_b64 exec, exec, s[2:3]
.LBB3_23:
	s_or_b64 exec, exec, s[36:37]
	v_or_b32_e32 v9, s13, v5
	v_mov_b32_e32 v8, 0
	v_cmp_ne_u64_e32 vcc, 0, v[8:9]
                                        ; implicit-def: $vgpr10_vgpr11
	s_and_saveexec_b64 s[2:3], vcc
	s_xor_b64 s[36:37], exec, s[2:3]
	s_cbranch_execz .LBB3_25
; %bb.24:
	s_ashr_i32 s38, s13, 31
	s_add_u32 s2, s12, s38
	s_mov_b32 s39, s38
	s_addc_u32 s3, s13, s38
	s_xor_b64 s[40:41], s[2:3], s[38:39]
	v_cvt_f32_u32_e32 v1, s40
	v_cvt_f32_u32_e32 v3, s41
	s_sub_u32 s20, 0, s40
	s_subb_u32 s39, 0, s41
	v_ashrrev_i32_e32 v10, 31, v5
	v_fmamk_f32 v1, v3, 0x4f800000, v1
	v_rcp_f32_e32 v1, v1
	v_mov_b32_e32 v11, v10
	v_lshl_add_u64 v[12:13], v[4:5], 0, v[10:11]
	v_mov_b32_e32 v17, v8
	v_mul_f32_e32 v1, 0x5f7ffffc, v1
	v_mul_f32_e32 v3, 0x2f800000, v1
	v_trunc_f32_e32 v3, v3
	v_fmamk_f32 v1, v3, 0xcf800000, v1
	v_cvt_u32_f32_e32 v3, v3
	v_cvt_u32_f32_e32 v1, v1
	v_readfirstlane_b32 s42, v3
	v_readfirstlane_b32 s2, v1
	s_mul_i32 s3, s20, s42
	s_mul_hi_u32 s44, s20, s2
	s_mul_i32 s43, s39, s2
	s_add_i32 s3, s44, s3
	s_add_i32 s3, s3, s43
	s_mul_i32 s45, s20, s2
	s_mul_i32 s44, s2, s3
	s_mul_hi_u32 s46, s2, s45
	s_mul_hi_u32 s43, s2, s3
	s_add_u32 s44, s46, s44
	s_addc_u32 s43, 0, s43
	s_mul_hi_u32 s47, s42, s45
	s_mul_i32 s45, s42, s45
	s_add_u32 s44, s44, s45
	s_mul_hi_u32 s46, s42, s3
	s_addc_u32 s43, s43, s47
	s_addc_u32 s44, s46, 0
	s_mul_i32 s3, s42, s3
	s_add_u32 s3, s43, s3
	s_addc_u32 s43, 0, s44
	s_add_u32 s44, s2, s3
	s_cselect_b64 s[2:3], -1, 0
	s_cmp_lg_u64 s[2:3], 0
	s_addc_u32 s42, s42, s43
	s_mul_i32 s2, s20, s42
	s_mul_hi_u32 s3, s20, s44
	s_add_i32 s2, s3, s2
	s_mul_i32 s39, s39, s44
	s_add_i32 s2, s2, s39
	s_mul_i32 s20, s20, s44
	s_mul_hi_u32 s39, s42, s20
	s_mul_i32 s43, s42, s20
	s_mul_i32 s46, s44, s2
	s_mul_hi_u32 s20, s44, s20
	s_mul_hi_u32 s45, s44, s2
	s_add_u32 s20, s20, s46
	s_addc_u32 s45, 0, s45
	s_add_u32 s20, s20, s43
	s_mul_hi_u32 s3, s42, s2
	s_addc_u32 s20, s45, s39
	s_addc_u32 s3, s3, 0
	s_mul_i32 s2, s42, s2
	s_add_u32 s2, s20, s2
	s_addc_u32 s20, 0, s3
	s_add_u32 s39, s44, s2
	s_cselect_b64 s[2:3], -1, 0
	s_cmp_lg_u64 s[2:3], 0
	s_addc_u32 s20, s42, s20
	v_xor_b32_e32 v3, v12, v10
	v_xor_b32_e32 v1, v13, v10
	v_mad_u64_u32 v[12:13], s[2:3], v3, s20, 0
	v_mul_hi_u32 v16, v3, s39
	v_lshl_add_u64 v[12:13], v[16:17], 0, v[12:13]
	v_mad_u64_u32 v[18:19], s[2:3], v1, s39, 0
	v_add_co_u32_e32 v9, vcc, v12, v18
	v_mad_u64_u32 v[16:17], s[2:3], v1, s20, 0
	s_nop 0
	v_addc_co_u32_e32 v12, vcc, v13, v19, vcc
	v_mov_b32_e32 v13, v8
	s_nop 0
	v_addc_co_u32_e32 v17, vcc, 0, v17, vcc
	v_lshl_add_u64 v[8:9], v[12:13], 0, v[16:17]
	v_mul_lo_u32 v11, s41, v8
	v_mul_lo_u32 v15, s40, v9
	v_mad_u64_u32 v[12:13], s[2:3], s40, v8, 0
	v_add3_u32 v11, v13, v15, v11
	v_sub_u32_e32 v13, v1, v11
	v_mov_b32_e32 v15, s41
	v_sub_co_u32_e32 v3, vcc, v3, v12
	v_lshl_add_u64 v[16:17], v[8:9], 0, 1
	s_nop 0
	v_subb_co_u32_e64 v12, s[2:3], v13, v15, vcc
	v_subrev_co_u32_e64 v13, s[2:3], s40, v3
	v_subb_co_u32_e32 v1, vcc, v1, v11, vcc
	s_nop 0
	v_subbrev_co_u32_e64 v12, s[2:3], 0, v12, s[2:3]
	v_cmp_le_u32_e64 s[2:3], s41, v12
	v_cmp_le_u32_e32 vcc, s41, v1
	s_nop 0
	v_cndmask_b32_e64 v15, 0, -1, s[2:3]
	v_cmp_le_u32_e64 s[2:3], s40, v13
	v_cndmask_b32_e64 v11, 0, -1, vcc
	v_cmp_le_u32_e32 vcc, s40, v3
	v_cndmask_b32_e64 v13, 0, -1, s[2:3]
	v_cmp_eq_u32_e64 s[2:3], s41, v12
	v_cndmask_b32_e64 v3, 0, -1, vcc
	v_cmp_eq_u32_e32 vcc, s41, v1
	v_cndmask_b32_e64 v15, v15, v13, s[2:3]
	v_lshl_add_u64 v[12:13], v[8:9], 0, 2
	v_cmp_ne_u32_e64 s[2:3], 0, v15
	v_cndmask_b32_e32 v1, v11, v3, vcc
	v_cmp_ne_u32_e32 vcc, 0, v1
	v_cndmask_b32_e64 v3, v16, v12, s[2:3]
	v_cndmask_b32_e64 v13, v17, v13, s[2:3]
	v_cndmask_b32_e32 v3, v8, v3, vcc
	v_xor_b32_e32 v8, s38, v10
	v_cndmask_b32_e32 v1, v9, v13, vcc
	v_xor_b32_e32 v3, v3, v8
	v_xor_b32_e32 v1, v1, v8
	v_sub_co_u32_e32 v10, vcc, v3, v8
	s_nop 1
	v_subb_co_u32_e32 v11, vcc, v1, v8, vcc
.LBB3_25:
	s_andn2_saveexec_b64 s[2:3], s[36:37]
	s_cbranch_execz .LBB3_27
; %bb.26:
	v_cvt_f32_u32_e32 v1, s12
	s_sub_i32 s20, 0, s12
	v_mov_b32_e32 v11, 0
	v_rcp_iflag_f32_e32 v1, v1
	s_nop 0
	v_mul_f32_e32 v1, 0x4f7ffffe, v1
	v_cvt_u32_f32_e32 v1, v1
	v_mul_lo_u32 v3, s20, v1
	v_mul_hi_u32 v3, v1, v3
	v_add_u32_e32 v1, v1, v3
	v_mul_hi_u32 v1, v4, v1
	v_mul_lo_u32 v3, v1, s12
	v_sub_u32_e32 v3, v4, v3
	v_add_u32_e32 v8, 1, v1
	v_subrev_u32_e32 v9, s12, v3
	v_cmp_le_u32_e32 vcc, s12, v3
	s_nop 1
	v_cndmask_b32_e32 v3, v3, v9, vcc
	v_cndmask_b32_e32 v1, v1, v8, vcc
	v_add_u32_e32 v8, 1, v1
	v_cmp_le_u32_e32 vcc, s12, v3
	s_nop 1
	v_cndmask_b32_e32 v10, v1, v8, vcc
.LBB3_27:
	s_or_b64 exec, exec, s[2:3]
	v_mul_lo_u32 v1, v7, s12
	v_mul_lo_u32 v3, v6, s13
	v_mad_u64_u32 v[8:9], s[2:3], v6, s12, 0
	v_add3_u32 v9, v9, v3, v1
	v_cmp_gt_i64_e32 vcc, v[8:9], v[4:5]
	v_mov_b64_e32 v[8:9], s[10:11]
	v_mad_u64_u32 v[8:9], s[2:3], v6, s12, v[8:9]
	v_add3_u32 v9, v1, v9, v3
	v_cmp_ge_i64_e64 s[2:3], v[4:5], v[8:9]
	s_or_b64 s[2:3], vcc, s[2:3]
	v_mov_b32_e32 v1, s15
	v_cndmask_b32_e64 v8, 0, 1, s[2:3]
	s_mov_b32 s2, 0
	v_mov_b32_e32 v9, s2
	v_cmp_gt_i64_e32 vcc, s[14:15], v[10:11]
	v_lshl_add_u64 v[12:13], v[6:7], 0, v[8:9]
	s_nop 0
	v_cndmask_b32_e32 v7, v1, v11, vcc
	v_mov_b32_e32 v1, s14
	v_cndmask_b32_e32 v6, v1, v10, vcc
	v_cmp_le_i64_e32 vcc, v[12:13], v[6:7]
	s_and_saveexec_b64 s[2:3], vcc
	s_cbranch_execz .LBB3_30
; %bb.28:
	global_load_dwordx2 v[8:9], v2, s[4:5]
	v_mul_lo_u32 v15, s13, v12
	v_mul_lo_u32 v18, s12, v13
	v_mad_u64_u32 v[16:17], s[36:37], s12, v12, 0
	v_add3_u32 v15, v17, v18, v15
	v_sub_co_u32_e32 v4, vcc, v4, v16
	v_mov_b32_e32 v3, 0
	s_nop 0
	v_subb_co_u32_e32 v5, vcc, v5, v15, vcc
	v_mul_lo_u32 v15, s19, v4
	v_mul_lo_u32 v16, s18, v5
	v_mad_u64_u32 v[4:5], s[36:37], s18, v4, 0
	v_lshl_add_u64 v[10:11], s[4:5], 0, v[2:3]
	v_mov_b32_e32 v1, v3
	v_lshl_add_u64 v[2:3], v[12:13], 0, -1
	v_add3_u32 v5, v5, v16, v15
	v_mul_lo_u32 v15, s17, v12
	v_mul_lo_u32 v16, s16, v13
	v_mad_u64_u32 v[12:13], s[36:37], s16, v12, 0
	s_mul_i32 s20, s12, s19
	s_mul_hi_u32 s38, s12, s18
	v_add3_u32 v13, v13, v16, v15
	s_add_i32 s20, s38, s20
	s_mul_i32 s38, s13, s18
	v_lshlrev_b64 v[12:13], 3, v[12:13]
	s_add_i32 s39, s20, s38
	s_mul_i32 s38, s12, s18
	v_lshl_add_u64 v[4:5], v[4:5], 3, v[12:13]
	s_lshl_b64 s[36:37], s[16:17], 3
	s_lshl_b64 s[38:39], s[38:39], 3
	v_lshl_add_u64 v[0:1], v[4:5], 0, v[0:1]
	s_sub_u32 s36, s36, s38
	v_lshl_add_u64 v[0:1], s[6:7], 0, v[0:1]
	s_subb_u32 s37, s37, s39
	s_mov_b64 s[38:39], 0
.LBB3_29:                               ; =>This Inner Loop Header: Depth=1
	global_load_dwordx2 v[4:5], v[0:1], off
	v_lshl_add_u64 v[2:3], v[2:3], 0, 1
	v_cmp_ge_i64_e32 vcc, v[2:3], v[6:7]
	v_lshl_add_u64 v[0:1], v[0:1], 0, s[36:37]
	s_or_b64 s[38:39], vcc, s[38:39]
	s_waitcnt vmcnt(0)
	v_lshl_add_u64 v[8:9], v[4:5], 0, v[8:9]
	global_store_dwordx2 v[10:11], v[8:9], off
	s_andn2_b64 exec, exec, s[38:39]
	s_cbranch_execnz .LBB3_29
.LBB3_30:
	s_or_b64 exec, exec, s[2:3]
	v_add_u32_e32 v14, 0x100, v14
	s_or_b64 exec, exec, s[66:67]
	v_cmp_gt_i32_e32 vcc, s70, v14
	s_and_saveexec_b64 s[66:67], vcc
	s_cbranch_execz .LBB3_2
.LBB3_31:
	s_and_b64 vcc, exec, s[0:1]
	s_cbranch_vccnz .LBB3_37
; %bb.32:
	v_mov_b32_e32 v4, 0
	s_andn2_b64 vcc, exec, s[64:65]
	v_mov_b32_e32 v0, 0
	v_mov_b32_e32 v2, 0
	s_cbranch_vccnz .LBB3_41
; %bb.33:
	s_add_i32 s71, s69, 1
	s_cmp_eq_u32 s68, 2
	s_cbranch_scc1 .LBB3_38
; %bb.34:
	s_and_b32 s20, s71, 28
	v_mov_b32_e32 v2, 0
	s_mov_b32 s72, 0
	s_mov_b64 s[2:3], s[62:63]
	v_mov_b32_e32 v6, v14
	v_mov_b32_e32 v0, 0
	;; [unrolled: 1-line block ×3, first 2 shown]
.LBB3_35:                               ; =>This Inner Loop Header: Depth=1
	s_load_dwordx8 s[36:43], s[2:3], 0x0
	s_load_dwordx4 s[52:55], s[2:3], 0x20
	s_load_dwordx4 s[56:59], s[2:3], 0xe0
	s_load_dwordx8 s[44:51], s[2:3], 0xc0
	s_add_i32 s72, s72, 4
	s_waitcnt lgkmcnt(0)
	v_mul_hi_u32 v1, s37, v6
	v_add_u32_e32 v1, v6, v1
	v_lshrrev_b32_e32 v1, s38, v1
	v_mul_hi_u32 v5, s40, v1
	v_add_u32_e32 v5, v1, v5
	v_lshrrev_b32_e32 v5, s41, v5
	v_mul_lo_u32 v3, v1, s36
	v_mul_lo_u32 v8, v5, s39
	v_mul_hi_u32 v9, s43, v5
	v_sub_u32_e32 v3, v6, v3
	v_sub_u32_e32 v1, v1, v8
	v_add_u32_e32 v8, v5, v9
	v_mul_lo_u32 v6, v3, s44
	v_mul_lo_u32 v7, v3, s46
	;; [unrolled: 1-line block ×6, first 2 shown]
	v_lshrrev_b32_e32 v8, s52, v8
	v_add3_u32 v0, v3, v0, v1
	v_add3_u32 v1, v7, v4, v10
	v_mul_hi_u32 v4, s54, v8
	v_add_u32_e32 v4, v8, v4
	v_add3_u32 v2, v6, v2, v9
	v_lshrrev_b32_e32 v6, s55, v4
	v_mul_lo_u32 v3, v8, s42
	v_mul_lo_u32 v4, v6, s53
	s_add_u32 s2, s2, 48
	v_sub_u32_e32 v3, v5, v3
	v_sub_u32_e32 v4, v8, v4
	s_addc_u32 s3, s3, 0
	v_mul_lo_u32 v5, v3, s50
	v_mul_lo_u32 v7, v3, s51
	;; [unrolled: 1-line block ×6, first 2 shown]
	s_cmp_eq_u32 s20, s72
	v_add3_u32 v2, v5, v2, v8
	v_add3_u32 v4, v3, v1, v4
	;; [unrolled: 1-line block ×3, first 2 shown]
	s_cbranch_scc0 .LBB3_35
; %bb.36:
	v_mov_b32_e32 v1, v4
	s_and_b32 s36, s71, 3
	s_cmp_eq_u32 s36, 0
	s_cbranch_scc0 .LBB3_39
	s_branch .LBB3_41
.LBB3_37:
                                        ; implicit-def: $vgpr4
                                        ; implicit-def: $vgpr0
                                        ; implicit-def: $vgpr2
	s_branch .LBB3_42
.LBB3_38:
	v_mov_b32_e32 v0, 0
	s_mov_b32 s20, 0
	v_mov_b32_e32 v1, v0
                                        ; implicit-def: $vgpr4
	v_mov_b32_e32 v6, v14
	v_mov_b32_e32 v2, v0
	s_and_b32 s36, s71, 3
	s_cmp_eq_u32 s36, 0
	s_cbranch_scc1 .LBB3_41
.LBB3_39:
	s_mul_i32 s2, s20, 12
	s_add_u32 s2, s27, s2
	s_addc_u32 s3, s33, 0
	s_add_u32 s2, s2, 4
	s_addc_u32 s3, s3, 0
.LBB3_40:                               ; =>This Inner Loop Header: Depth=1
	s_load_dwordx2 s[38:39], s[2:3], 0x0
	s_load_dword s20, s[2:3], 0x8
	s_load_dwordx2 s[40:41], s[2:3], 0xc0
	s_load_dword s37, s[2:3], 0xc8
	v_mov_b32_e32 v4, v1
	s_waitcnt lgkmcnt(0)
	v_mul_hi_u32 v1, s39, v6
	v_add_u32_e32 v1, v6, v1
	v_lshrrev_b32_e32 v1, s20, v1
	v_mul_lo_u32 v3, v1, s38
	s_add_u32 s2, s2, 12
	v_sub_u32_e32 v7, v6, v3
	s_addc_u32 s3, s3, 0
	s_add_i32 s36, s36, -1
	v_mov_b32_e32 v6, v1
	v_mad_u64_u32 v[4:5], s[38:39], v7, s37, v[4:5]
	v_mad_u64_u32 v[0:1], s[38:39], v7, s41, v[0:1]
	s_cmp_lg_u32 s36, 0
	v_mad_u64_u32 v[2:3], s[38:39], v7, s40, v[2:3]
	v_mov_b32_e32 v1, v4
	s_cbranch_scc1 .LBB3_40
.LBB3_41:
	s_cbranch_execnz .LBB3_44
.LBB3_42:
	v_mul_hi_u32 v0, s22, v14
	v_add_u32_e32 v0, v14, v0
	v_lshrrev_b32_e32 v1, s23, v0
	v_mul_lo_u32 v0, v1, s21
	v_sub_u32_e32 v0, v14, v0
	v_mul_lo_u32 v2, v0, s28
	v_mul_lo_u32 v4, v0, s30
	s_andn2_b64 vcc, exec, s[60:61]
	v_mul_lo_u32 v0, v0, s29
	s_cbranch_vccnz .LBB3_44
; %bb.43:
	v_mul_hi_u32 v3, s25, v1
	v_add_u32_e32 v3, v1, v3
	v_lshrrev_b32_e32 v3, s26, v3
	v_mul_lo_u32 v3, v3, s24
	v_sub_u32_e32 v5, v1, v3
	v_mad_u64_u32 v[2:3], s[2:3], v5, s31, v[2:3]
	v_mad_u64_u32 v[0:1], s[2:3], v5, s34, v[0:1]
	;; [unrolled: 1-line block ×3, first 2 shown]
.LBB3_44:
	global_load_dwordx2 v[4:5], v4, s[8:9]
	v_mov_b64_e32 v[6:7], 0
	s_waitcnt vmcnt(0)
	v_cmp_lt_i64_e32 vcc, s[10:11], v[4:5]
	s_and_saveexec_b64 s[36:37], vcc
	s_cbranch_execz .LBB3_50
; %bb.45:
	v_mov_b32_e32 v1, s11
	v_subrev_co_u32_e32 v8, vcc, s10, v4
	v_mov_b32_e32 v10, 0
	s_nop 0
	v_subb_co_u32_e32 v9, vcc, v5, v1, vcc
	v_or_b32_e32 v11, s13, v9
	v_cmp_ne_u64_e32 vcc, 0, v[10:11]
                                        ; implicit-def: $vgpr6_vgpr7
	s_and_saveexec_b64 s[2:3], vcc
	s_xor_b64 s[38:39], exec, s[2:3]
	s_cbranch_execz .LBB3_47
; %bb.46:
	s_ashr_i32 s40, s13, 31
	s_add_u32 s2, s12, s40
	s_mov_b32 s41, s40
	s_addc_u32 s3, s13, s40
	s_xor_b64 s[42:43], s[2:3], s[40:41]
	v_cvt_f32_u32_e32 v1, s42
	v_cvt_f32_u32_e32 v3, s43
	s_sub_u32 s20, 0, s42
	s_subb_u32 s41, 0, s43
	v_ashrrev_i32_e32 v6, 31, v9
	v_fmamk_f32 v1, v3, 0x4f800000, v1
	v_rcp_f32_e32 v1, v1
	v_mov_b32_e32 v7, v6
	v_lshl_add_u64 v[8:9], v[8:9], 0, v[6:7]
	v_mov_b32_e32 v13, v10
	v_mul_f32_e32 v1, 0x5f7ffffc, v1
	v_mul_f32_e32 v3, 0x2f800000, v1
	v_trunc_f32_e32 v3, v3
	v_fmamk_f32 v1, v3, 0xcf800000, v1
	v_cvt_u32_f32_e32 v3, v3
	v_cvt_u32_f32_e32 v1, v1
	v_readfirstlane_b32 s44, v3
	v_readfirstlane_b32 s2, v1
	s_mul_i32 s3, s20, s44
	s_mul_hi_u32 s46, s20, s2
	s_mul_i32 s45, s41, s2
	s_add_i32 s3, s46, s3
	s_add_i32 s3, s3, s45
	s_mul_i32 s47, s20, s2
	s_mul_i32 s46, s2, s3
	s_mul_hi_u32 s48, s2, s47
	s_mul_hi_u32 s45, s2, s3
	s_add_u32 s46, s48, s46
	s_addc_u32 s45, 0, s45
	s_mul_hi_u32 s49, s44, s47
	s_mul_i32 s47, s44, s47
	s_add_u32 s46, s46, s47
	s_mul_hi_u32 s48, s44, s3
	s_addc_u32 s45, s45, s49
	s_addc_u32 s46, s48, 0
	s_mul_i32 s3, s44, s3
	s_add_u32 s3, s45, s3
	s_addc_u32 s45, 0, s46
	s_add_u32 s46, s2, s3
	s_cselect_b64 s[2:3], -1, 0
	s_cmp_lg_u64 s[2:3], 0
	s_addc_u32 s44, s44, s45
	s_mul_i32 s2, s20, s44
	s_mul_hi_u32 s3, s20, s46
	s_add_i32 s2, s3, s2
	s_mul_i32 s41, s41, s46
	s_add_i32 s2, s2, s41
	s_mul_i32 s20, s20, s46
	s_mul_hi_u32 s41, s44, s20
	s_mul_i32 s45, s44, s20
	s_mul_i32 s48, s46, s2
	s_mul_hi_u32 s20, s46, s20
	s_mul_hi_u32 s47, s46, s2
	s_add_u32 s20, s20, s48
	s_addc_u32 s47, 0, s47
	s_add_u32 s20, s20, s45
	s_mul_hi_u32 s3, s44, s2
	s_addc_u32 s20, s47, s41
	s_addc_u32 s3, s3, 0
	s_mul_i32 s2, s44, s2
	s_add_u32 s2, s20, s2
	s_addc_u32 s20, 0, s3
	s_add_u32 s41, s46, s2
	s_cselect_b64 s[2:3], -1, 0
	s_cmp_lg_u64 s[2:3], 0
	s_addc_u32 s20, s44, s20
	v_xor_b32_e32 v3, v8, v6
	v_xor_b32_e32 v1, v9, v6
	v_mad_u64_u32 v[8:9], s[2:3], v3, s20, 0
	v_mul_hi_u32 v12, v3, s41
	v_lshl_add_u64 v[8:9], v[12:13], 0, v[8:9]
	v_mad_u64_u32 v[16:17], s[2:3], v1, s41, 0
	v_add_co_u32_e32 v7, vcc, v8, v16
	v_mad_u64_u32 v[12:13], s[2:3], v1, s20, 0
	s_nop 0
	v_addc_co_u32_e32 v8, vcc, v9, v17, vcc
	v_mov_b32_e32 v9, v10
	s_nop 0
	v_addc_co_u32_e32 v13, vcc, 0, v13, vcc
	v_lshl_add_u64 v[8:9], v[8:9], 0, v[12:13]
	v_mul_lo_u32 v7, s43, v8
	v_mul_lo_u32 v12, s42, v9
	v_mad_u64_u32 v[10:11], s[2:3], s42, v8, 0
	v_add3_u32 v7, v11, v12, v7
	v_sub_u32_e32 v11, v1, v7
	v_mov_b32_e32 v12, s43
	v_sub_co_u32_e32 v3, vcc, v3, v10
	s_nop 1
	v_subb_co_u32_e64 v10, s[2:3], v11, v12, vcc
	v_subrev_co_u32_e64 v11, s[2:3], s42, v3
	v_subb_co_u32_e32 v1, vcc, v1, v7, vcc
	s_nop 0
	v_subbrev_co_u32_e64 v10, s[2:3], 0, v10, s[2:3]
	v_cmp_le_u32_e64 s[2:3], s43, v10
	v_cmp_le_u32_e32 vcc, s43, v1
	s_nop 0
	v_cndmask_b32_e64 v12, 0, -1, s[2:3]
	v_cmp_le_u32_e64 s[2:3], s42, v11
	v_cndmask_b32_e64 v7, 0, -1, vcc
	v_cmp_le_u32_e32 vcc, s42, v3
	v_cndmask_b32_e64 v11, 0, -1, s[2:3]
	v_cmp_eq_u32_e64 s[2:3], s43, v10
	v_cndmask_b32_e64 v3, 0, -1, vcc
	v_cmp_eq_u32_e32 vcc, s43, v1
	v_cndmask_b32_e64 v15, v12, v11, s[2:3]
	v_lshl_add_u64 v[10:11], v[8:9], 0, 2
	v_lshl_add_u64 v[12:13], v[8:9], 0, 1
	v_cmp_ne_u32_e64 s[2:3], 0, v15
	v_cndmask_b32_e32 v1, v7, v3, vcc
	v_cmp_ne_u32_e32 vcc, 0, v1
	v_cndmask_b32_e64 v3, v12, v10, s[2:3]
	v_cndmask_b32_e64 v11, v13, v11, s[2:3]
	v_cndmask_b32_e32 v3, v8, v3, vcc
	v_xor_b32_e32 v7, s40, v6
	v_cndmask_b32_e32 v1, v9, v11, vcc
	v_xor_b32_e32 v3, v3, v7
	v_xor_b32_e32 v1, v1, v7
	v_sub_co_u32_e32 v6, vcc, v3, v7
                                        ; implicit-def: $vgpr8
	s_nop 1
	v_subb_co_u32_e32 v7, vcc, v1, v7, vcc
.LBB3_47:
	s_andn2_saveexec_b64 s[2:3], s[38:39]
	s_cbranch_execz .LBB3_49
; %bb.48:
	v_cvt_f32_u32_e32 v1, s12
	s_sub_i32 s20, 0, s12
	v_rcp_iflag_f32_e32 v1, v1
	s_nop 0
	v_mul_f32_e32 v1, 0x4f7ffffe, v1
	v_cvt_u32_f32_e32 v1, v1
	v_mul_lo_u32 v3, s20, v1
	v_mul_hi_u32 v3, v1, v3
	v_add_u32_e32 v1, v1, v3
	v_mul_hi_u32 v1, v8, v1
	v_mul_lo_u32 v3, v1, s12
	v_sub_u32_e32 v3, v8, v3
	v_add_u32_e32 v6, 1, v1
	v_subrev_u32_e32 v7, s12, v3
	v_cmp_le_u32_e32 vcc, s12, v3
	s_nop 1
	v_cndmask_b32_e32 v3, v3, v7, vcc
	v_cndmask_b32_e32 v1, v1, v6, vcc
	v_add_u32_e32 v6, 1, v1
	v_cmp_le_u32_e32 vcc, s12, v3
	v_mov_b32_e32 v7, 0
	s_nop 0
	v_cndmask_b32_e32 v6, v1, v6, vcc
.LBB3_49:
	s_or_b64 exec, exec, s[2:3]
.LBB3_50:
	s_or_b64 exec, exec, s[36:37]
	v_or_b32_e32 v9, s13, v5
	v_mov_b32_e32 v8, 0
	v_cmp_ne_u64_e32 vcc, 0, v[8:9]
                                        ; implicit-def: $vgpr10_vgpr11
	s_and_saveexec_b64 s[2:3], vcc
	s_xor_b64 s[36:37], exec, s[2:3]
	s_cbranch_execz .LBB3_52
; %bb.51:
	s_ashr_i32 s38, s13, 31
	s_add_u32 s2, s12, s38
	s_mov_b32 s39, s38
	s_addc_u32 s3, s13, s38
	s_xor_b64 s[40:41], s[2:3], s[38:39]
	v_cvt_f32_u32_e32 v1, s40
	v_cvt_f32_u32_e32 v3, s41
	s_sub_u32 s20, 0, s40
	s_subb_u32 s39, 0, s41
	v_ashrrev_i32_e32 v10, 31, v5
	v_fmamk_f32 v1, v3, 0x4f800000, v1
	v_rcp_f32_e32 v1, v1
	v_mov_b32_e32 v11, v10
	v_lshl_add_u64 v[12:13], v[4:5], 0, v[10:11]
	v_mov_b32_e32 v17, v8
	v_mul_f32_e32 v1, 0x5f7ffffc, v1
	v_mul_f32_e32 v3, 0x2f800000, v1
	v_trunc_f32_e32 v3, v3
	v_fmamk_f32 v1, v3, 0xcf800000, v1
	v_cvt_u32_f32_e32 v3, v3
	v_cvt_u32_f32_e32 v1, v1
	v_readfirstlane_b32 s42, v3
	v_readfirstlane_b32 s2, v1
	s_mul_i32 s3, s20, s42
	s_mul_hi_u32 s44, s20, s2
	s_mul_i32 s43, s39, s2
	s_add_i32 s3, s44, s3
	s_add_i32 s3, s3, s43
	s_mul_i32 s45, s20, s2
	s_mul_i32 s44, s2, s3
	s_mul_hi_u32 s46, s2, s45
	s_mul_hi_u32 s43, s2, s3
	s_add_u32 s44, s46, s44
	s_addc_u32 s43, 0, s43
	s_mul_hi_u32 s47, s42, s45
	s_mul_i32 s45, s42, s45
	s_add_u32 s44, s44, s45
	s_mul_hi_u32 s46, s42, s3
	s_addc_u32 s43, s43, s47
	s_addc_u32 s44, s46, 0
	s_mul_i32 s3, s42, s3
	s_add_u32 s3, s43, s3
	s_addc_u32 s43, 0, s44
	s_add_u32 s44, s2, s3
	s_cselect_b64 s[2:3], -1, 0
	s_cmp_lg_u64 s[2:3], 0
	s_addc_u32 s42, s42, s43
	s_mul_i32 s2, s20, s42
	s_mul_hi_u32 s3, s20, s44
	s_add_i32 s2, s3, s2
	s_mul_i32 s39, s39, s44
	s_add_i32 s2, s2, s39
	s_mul_i32 s20, s20, s44
	s_mul_hi_u32 s39, s42, s20
	s_mul_i32 s43, s42, s20
	s_mul_i32 s46, s44, s2
	s_mul_hi_u32 s20, s44, s20
	s_mul_hi_u32 s45, s44, s2
	s_add_u32 s20, s20, s46
	s_addc_u32 s45, 0, s45
	s_add_u32 s20, s20, s43
	s_mul_hi_u32 s3, s42, s2
	s_addc_u32 s20, s45, s39
	s_addc_u32 s3, s3, 0
	s_mul_i32 s2, s42, s2
	s_add_u32 s2, s20, s2
	s_addc_u32 s20, 0, s3
	s_add_u32 s39, s44, s2
	s_cselect_b64 s[2:3], -1, 0
	s_cmp_lg_u64 s[2:3], 0
	s_addc_u32 s20, s42, s20
	v_xor_b32_e32 v3, v12, v10
	v_xor_b32_e32 v1, v13, v10
	v_mad_u64_u32 v[12:13], s[2:3], v3, s20, 0
	v_mul_hi_u32 v16, v3, s39
	v_lshl_add_u64 v[12:13], v[16:17], 0, v[12:13]
	v_mad_u64_u32 v[18:19], s[2:3], v1, s39, 0
	v_add_co_u32_e32 v9, vcc, v12, v18
	v_mad_u64_u32 v[16:17], s[2:3], v1, s20, 0
	s_nop 0
	v_addc_co_u32_e32 v12, vcc, v13, v19, vcc
	v_mov_b32_e32 v13, v8
	s_nop 0
	v_addc_co_u32_e32 v17, vcc, 0, v17, vcc
	v_lshl_add_u64 v[8:9], v[12:13], 0, v[16:17]
	v_mul_lo_u32 v11, s41, v8
	v_mul_lo_u32 v15, s40, v9
	v_mad_u64_u32 v[12:13], s[2:3], s40, v8, 0
	v_add3_u32 v11, v13, v15, v11
	v_sub_u32_e32 v13, v1, v11
	v_mov_b32_e32 v15, s41
	v_sub_co_u32_e32 v3, vcc, v3, v12
	v_lshl_add_u64 v[16:17], v[8:9], 0, 1
	s_nop 0
	v_subb_co_u32_e64 v12, s[2:3], v13, v15, vcc
	v_subrev_co_u32_e64 v13, s[2:3], s40, v3
	v_subb_co_u32_e32 v1, vcc, v1, v11, vcc
	s_nop 0
	v_subbrev_co_u32_e64 v12, s[2:3], 0, v12, s[2:3]
	v_cmp_le_u32_e64 s[2:3], s41, v12
	v_cmp_le_u32_e32 vcc, s41, v1
	s_nop 0
	v_cndmask_b32_e64 v15, 0, -1, s[2:3]
	v_cmp_le_u32_e64 s[2:3], s40, v13
	v_cndmask_b32_e64 v11, 0, -1, vcc
	v_cmp_le_u32_e32 vcc, s40, v3
	v_cndmask_b32_e64 v13, 0, -1, s[2:3]
	v_cmp_eq_u32_e64 s[2:3], s41, v12
	v_cndmask_b32_e64 v3, 0, -1, vcc
	v_cmp_eq_u32_e32 vcc, s41, v1
	v_cndmask_b32_e64 v15, v15, v13, s[2:3]
	v_lshl_add_u64 v[12:13], v[8:9], 0, 2
	v_cmp_ne_u32_e64 s[2:3], 0, v15
	v_cndmask_b32_e32 v1, v11, v3, vcc
	v_cmp_ne_u32_e32 vcc, 0, v1
	v_cndmask_b32_e64 v3, v16, v12, s[2:3]
	v_cndmask_b32_e64 v13, v17, v13, s[2:3]
	v_cndmask_b32_e32 v3, v8, v3, vcc
	v_xor_b32_e32 v8, s38, v10
	v_cndmask_b32_e32 v1, v9, v13, vcc
	v_xor_b32_e32 v3, v3, v8
	v_xor_b32_e32 v1, v1, v8
	v_sub_co_u32_e32 v10, vcc, v3, v8
	s_nop 1
	v_subb_co_u32_e32 v11, vcc, v1, v8, vcc
.LBB3_52:
	s_andn2_saveexec_b64 s[2:3], s[36:37]
	s_cbranch_execz .LBB3_54
; %bb.53:
	v_cvt_f32_u32_e32 v1, s12
	s_sub_i32 s20, 0, s12
	v_mov_b32_e32 v11, 0
	v_rcp_iflag_f32_e32 v1, v1
	s_nop 0
	v_mul_f32_e32 v1, 0x4f7ffffe, v1
	v_cvt_u32_f32_e32 v1, v1
	v_mul_lo_u32 v3, s20, v1
	v_mul_hi_u32 v3, v1, v3
	v_add_u32_e32 v1, v1, v3
	v_mul_hi_u32 v1, v4, v1
	v_mul_lo_u32 v3, v1, s12
	v_sub_u32_e32 v3, v4, v3
	v_add_u32_e32 v8, 1, v1
	v_subrev_u32_e32 v9, s12, v3
	v_cmp_le_u32_e32 vcc, s12, v3
	s_nop 1
	v_cndmask_b32_e32 v3, v3, v9, vcc
	v_cndmask_b32_e32 v1, v1, v8, vcc
	v_add_u32_e32 v8, 1, v1
	v_cmp_le_u32_e32 vcc, s12, v3
	s_nop 1
	v_cndmask_b32_e32 v10, v1, v8, vcc
.LBB3_54:
	s_or_b64 exec, exec, s[2:3]
	v_mul_lo_u32 v1, v7, s12
	v_mul_lo_u32 v3, v6, s13
	v_mad_u64_u32 v[8:9], s[2:3], v6, s12, 0
	v_add3_u32 v9, v9, v3, v1
	v_cmp_gt_i64_e32 vcc, v[8:9], v[4:5]
	v_mov_b64_e32 v[8:9], s[10:11]
	v_mad_u64_u32 v[8:9], s[2:3], v6, s12, v[8:9]
	v_add3_u32 v9, v1, v9, v3
	v_cmp_ge_i64_e64 s[2:3], v[4:5], v[8:9]
	s_or_b64 s[2:3], vcc, s[2:3]
	v_mov_b32_e32 v1, s15
	v_cndmask_b32_e64 v8, 0, 1, s[2:3]
	s_mov_b32 s2, 0
	v_mov_b32_e32 v9, s2
	v_cmp_gt_i64_e32 vcc, s[14:15], v[10:11]
	v_lshl_add_u64 v[12:13], v[6:7], 0, v[8:9]
	s_nop 0
	v_cndmask_b32_e32 v7, v1, v11, vcc
	v_mov_b32_e32 v1, s14
	v_cndmask_b32_e32 v6, v1, v10, vcc
	v_cmp_le_i64_e32 vcc, v[12:13], v[6:7]
	s_and_saveexec_b64 s[2:3], vcc
	s_cbranch_execz .LBB3_57
; %bb.55:
	global_load_dwordx2 v[8:9], v2, s[4:5]
	v_mul_lo_u32 v15, s13, v12
	v_mul_lo_u32 v18, s12, v13
	v_mad_u64_u32 v[16:17], s[36:37], s12, v12, 0
	v_add3_u32 v15, v17, v18, v15
	v_sub_co_u32_e32 v4, vcc, v4, v16
	v_mov_b32_e32 v3, 0
	s_nop 0
	v_subb_co_u32_e32 v5, vcc, v5, v15, vcc
	v_mul_lo_u32 v15, s19, v4
	v_mul_lo_u32 v16, s18, v5
	v_mad_u64_u32 v[4:5], s[36:37], s18, v4, 0
	v_lshl_add_u64 v[10:11], s[4:5], 0, v[2:3]
	v_mov_b32_e32 v1, v3
	v_lshl_add_u64 v[2:3], v[12:13], 0, -1
	v_add3_u32 v5, v5, v16, v15
	v_mul_lo_u32 v15, s17, v12
	v_mul_lo_u32 v16, s16, v13
	v_mad_u64_u32 v[12:13], s[36:37], s16, v12, 0
	s_mul_i32 s20, s12, s19
	s_mul_hi_u32 s38, s12, s18
	v_add3_u32 v13, v13, v16, v15
	s_add_i32 s20, s38, s20
	s_mul_i32 s38, s13, s18
	v_lshlrev_b64 v[12:13], 3, v[12:13]
	s_add_i32 s39, s20, s38
	s_mul_i32 s38, s12, s18
	v_lshl_add_u64 v[4:5], v[4:5], 3, v[12:13]
	s_lshl_b64 s[36:37], s[16:17], 3
	s_lshl_b64 s[38:39], s[38:39], 3
	v_lshl_add_u64 v[0:1], v[4:5], 0, v[0:1]
	s_sub_u32 s36, s36, s38
	v_lshl_add_u64 v[0:1], s[6:7], 0, v[0:1]
	s_subb_u32 s37, s37, s39
	s_mov_b64 s[38:39], 0
.LBB3_56:                               ; =>This Inner Loop Header: Depth=1
	global_load_dwordx2 v[4:5], v[0:1], off
	v_lshl_add_u64 v[2:3], v[2:3], 0, 1
	v_cmp_ge_i64_e32 vcc, v[2:3], v[6:7]
	v_lshl_add_u64 v[0:1], v[0:1], 0, s[36:37]
	s_or_b64 s[38:39], vcc, s[38:39]
	s_waitcnt vmcnt(0)
	v_lshl_add_u64 v[8:9], v[4:5], 0, v[8:9]
	global_store_dwordx2 v[10:11], v[8:9], off
	s_andn2_b64 exec, exec, s[38:39]
	s_cbranch_execnz .LBB3_56
.LBB3_57:
	s_or_b64 exec, exec, s[2:3]
	v_add_u32_e32 v14, 0x100, v14
	s_or_b64 exec, exec, s[66:67]
	v_cmp_gt_i32_e32 vcc, s70, v14
	s_and_saveexec_b64 s[66:67], vcc
	s_cbranch_execz .LBB3_3
.LBB3_58:
	s_and_b64 vcc, exec, s[0:1]
	s_cbranch_vccnz .LBB3_64
; %bb.59:
	v_mov_b32_e32 v4, 0
	s_andn2_b64 vcc, exec, s[64:65]
	v_mov_b32_e32 v0, 0
	v_mov_b32_e32 v2, 0
	s_cbranch_vccnz .LBB3_68
; %bb.60:
	s_add_i32 s71, s69, 1
	s_cmp_eq_u32 s68, 2
	s_cbranch_scc1 .LBB3_65
; %bb.61:
	s_and_b32 s20, s71, 28
	v_mov_b32_e32 v2, 0
	s_mov_b32 s72, 0
	s_mov_b64 s[2:3], s[62:63]
	v_mov_b32_e32 v6, v14
	v_mov_b32_e32 v0, 0
	;; [unrolled: 1-line block ×3, first 2 shown]
.LBB3_62:                               ; =>This Inner Loop Header: Depth=1
	s_load_dwordx8 s[36:43], s[2:3], 0x0
	s_load_dwordx4 s[52:55], s[2:3], 0x20
	s_load_dwordx4 s[56:59], s[2:3], 0xe0
	s_load_dwordx8 s[44:51], s[2:3], 0xc0
	s_add_i32 s72, s72, 4
	s_waitcnt lgkmcnt(0)
	v_mul_hi_u32 v1, s37, v6
	v_add_u32_e32 v1, v6, v1
	v_lshrrev_b32_e32 v1, s38, v1
	v_mul_hi_u32 v5, s40, v1
	v_add_u32_e32 v5, v1, v5
	v_lshrrev_b32_e32 v5, s41, v5
	v_mul_lo_u32 v3, v1, s36
	v_mul_lo_u32 v8, v5, s39
	v_mul_hi_u32 v9, s43, v5
	v_sub_u32_e32 v3, v6, v3
	v_sub_u32_e32 v1, v1, v8
	v_add_u32_e32 v8, v5, v9
	v_mul_lo_u32 v6, v3, s44
	v_mul_lo_u32 v7, v3, s46
	;; [unrolled: 1-line block ×6, first 2 shown]
	v_lshrrev_b32_e32 v8, s52, v8
	v_add3_u32 v0, v3, v0, v1
	v_add3_u32 v1, v7, v4, v10
	v_mul_hi_u32 v4, s54, v8
	v_add_u32_e32 v4, v8, v4
	v_add3_u32 v2, v6, v2, v9
	v_lshrrev_b32_e32 v6, s55, v4
	v_mul_lo_u32 v3, v8, s42
	v_mul_lo_u32 v4, v6, s53
	s_add_u32 s2, s2, 48
	v_sub_u32_e32 v3, v5, v3
	v_sub_u32_e32 v4, v8, v4
	s_addc_u32 s3, s3, 0
	v_mul_lo_u32 v5, v3, s50
	v_mul_lo_u32 v7, v3, s51
	;; [unrolled: 1-line block ×6, first 2 shown]
	s_cmp_eq_u32 s20, s72
	v_add3_u32 v2, v5, v2, v8
	v_add3_u32 v4, v3, v1, v4
	;; [unrolled: 1-line block ×3, first 2 shown]
	s_cbranch_scc0 .LBB3_62
; %bb.63:
	v_mov_b32_e32 v1, v4
	s_and_b32 s36, s71, 3
	s_cmp_eq_u32 s36, 0
	s_cbranch_scc0 .LBB3_66
	s_branch .LBB3_68
.LBB3_64:
                                        ; implicit-def: $vgpr4
                                        ; implicit-def: $vgpr0
                                        ; implicit-def: $vgpr2
	s_branch .LBB3_69
.LBB3_65:
	v_mov_b32_e32 v0, 0
	s_mov_b32 s20, 0
	v_mov_b32_e32 v1, v0
                                        ; implicit-def: $vgpr4
	v_mov_b32_e32 v6, v14
	v_mov_b32_e32 v2, v0
	s_and_b32 s36, s71, 3
	s_cmp_eq_u32 s36, 0
	s_cbranch_scc1 .LBB3_68
.LBB3_66:
	s_mul_i32 s2, s20, 12
	s_add_u32 s2, s27, s2
	s_addc_u32 s3, s33, 0
	s_add_u32 s2, s2, 4
	s_addc_u32 s3, s3, 0
.LBB3_67:                               ; =>This Inner Loop Header: Depth=1
	s_load_dwordx2 s[38:39], s[2:3], 0x0
	s_load_dword s20, s[2:3], 0x8
	s_load_dwordx2 s[40:41], s[2:3], 0xc0
	s_load_dword s37, s[2:3], 0xc8
	v_mov_b32_e32 v4, v1
	s_waitcnt lgkmcnt(0)
	v_mul_hi_u32 v1, s39, v6
	v_add_u32_e32 v1, v6, v1
	v_lshrrev_b32_e32 v1, s20, v1
	v_mul_lo_u32 v3, v1, s38
	s_add_u32 s2, s2, 12
	v_sub_u32_e32 v7, v6, v3
	s_addc_u32 s3, s3, 0
	s_add_i32 s36, s36, -1
	v_mov_b32_e32 v6, v1
	v_mad_u64_u32 v[4:5], s[38:39], v7, s37, v[4:5]
	v_mad_u64_u32 v[0:1], s[38:39], v7, s41, v[0:1]
	s_cmp_lg_u32 s36, 0
	v_mad_u64_u32 v[2:3], s[38:39], v7, s40, v[2:3]
	v_mov_b32_e32 v1, v4
	s_cbranch_scc1 .LBB3_67
.LBB3_68:
	s_cbranch_execnz .LBB3_71
.LBB3_69:
	v_mul_hi_u32 v0, s22, v14
	v_add_u32_e32 v0, v14, v0
	v_lshrrev_b32_e32 v1, s23, v0
	v_mul_lo_u32 v0, v1, s21
	v_sub_u32_e32 v0, v14, v0
	v_mul_lo_u32 v2, v0, s28
	v_mul_lo_u32 v4, v0, s30
	s_andn2_b64 vcc, exec, s[60:61]
	v_mul_lo_u32 v0, v0, s29
	s_cbranch_vccnz .LBB3_71
; %bb.70:
	v_mul_hi_u32 v3, s25, v1
	v_add_u32_e32 v3, v1, v3
	v_lshrrev_b32_e32 v3, s26, v3
	v_mul_lo_u32 v3, v3, s24
	v_sub_u32_e32 v5, v1, v3
	v_mad_u64_u32 v[2:3], s[2:3], v5, s31, v[2:3]
	v_mad_u64_u32 v[0:1], s[2:3], v5, s34, v[0:1]
	;; [unrolled: 1-line block ×3, first 2 shown]
.LBB3_71:
	global_load_dwordx2 v[4:5], v4, s[8:9]
	v_mov_b64_e32 v[6:7], 0
	s_waitcnt vmcnt(0)
	v_cmp_lt_i64_e32 vcc, s[10:11], v[4:5]
	s_and_saveexec_b64 s[36:37], vcc
	s_cbranch_execz .LBB3_77
; %bb.72:
	v_mov_b32_e32 v1, s11
	v_subrev_co_u32_e32 v8, vcc, s10, v4
	v_mov_b32_e32 v10, 0
	s_nop 0
	v_subb_co_u32_e32 v9, vcc, v5, v1, vcc
	v_or_b32_e32 v11, s13, v9
	v_cmp_ne_u64_e32 vcc, 0, v[10:11]
                                        ; implicit-def: $vgpr6_vgpr7
	s_and_saveexec_b64 s[2:3], vcc
	s_xor_b64 s[38:39], exec, s[2:3]
	s_cbranch_execz .LBB3_74
; %bb.73:
	s_ashr_i32 s40, s13, 31
	s_add_u32 s2, s12, s40
	s_mov_b32 s41, s40
	s_addc_u32 s3, s13, s40
	s_xor_b64 s[42:43], s[2:3], s[40:41]
	v_cvt_f32_u32_e32 v1, s42
	v_cvt_f32_u32_e32 v3, s43
	s_sub_u32 s20, 0, s42
	s_subb_u32 s41, 0, s43
	v_ashrrev_i32_e32 v6, 31, v9
	v_fmamk_f32 v1, v3, 0x4f800000, v1
	v_rcp_f32_e32 v1, v1
	v_mov_b32_e32 v7, v6
	v_lshl_add_u64 v[8:9], v[8:9], 0, v[6:7]
	v_mov_b32_e32 v13, v10
	v_mul_f32_e32 v1, 0x5f7ffffc, v1
	v_mul_f32_e32 v3, 0x2f800000, v1
	v_trunc_f32_e32 v3, v3
	v_fmamk_f32 v1, v3, 0xcf800000, v1
	v_cvt_u32_f32_e32 v3, v3
	v_cvt_u32_f32_e32 v1, v1
	v_readfirstlane_b32 s44, v3
	v_readfirstlane_b32 s2, v1
	s_mul_i32 s3, s20, s44
	s_mul_hi_u32 s46, s20, s2
	s_mul_i32 s45, s41, s2
	s_add_i32 s3, s46, s3
	s_add_i32 s3, s3, s45
	s_mul_i32 s47, s20, s2
	s_mul_i32 s46, s2, s3
	s_mul_hi_u32 s48, s2, s47
	s_mul_hi_u32 s45, s2, s3
	s_add_u32 s46, s48, s46
	s_addc_u32 s45, 0, s45
	s_mul_hi_u32 s49, s44, s47
	s_mul_i32 s47, s44, s47
	s_add_u32 s46, s46, s47
	s_mul_hi_u32 s48, s44, s3
	s_addc_u32 s45, s45, s49
	s_addc_u32 s46, s48, 0
	s_mul_i32 s3, s44, s3
	s_add_u32 s3, s45, s3
	s_addc_u32 s45, 0, s46
	s_add_u32 s46, s2, s3
	s_cselect_b64 s[2:3], -1, 0
	s_cmp_lg_u64 s[2:3], 0
	s_addc_u32 s44, s44, s45
	s_mul_i32 s2, s20, s44
	s_mul_hi_u32 s3, s20, s46
	s_add_i32 s2, s3, s2
	s_mul_i32 s41, s41, s46
	s_add_i32 s2, s2, s41
	s_mul_i32 s20, s20, s46
	s_mul_hi_u32 s41, s44, s20
	s_mul_i32 s45, s44, s20
	s_mul_i32 s48, s46, s2
	s_mul_hi_u32 s20, s46, s20
	s_mul_hi_u32 s47, s46, s2
	s_add_u32 s20, s20, s48
	s_addc_u32 s47, 0, s47
	s_add_u32 s20, s20, s45
	s_mul_hi_u32 s3, s44, s2
	s_addc_u32 s20, s47, s41
	s_addc_u32 s3, s3, 0
	s_mul_i32 s2, s44, s2
	s_add_u32 s2, s20, s2
	s_addc_u32 s20, 0, s3
	s_add_u32 s41, s46, s2
	s_cselect_b64 s[2:3], -1, 0
	s_cmp_lg_u64 s[2:3], 0
	s_addc_u32 s20, s44, s20
	v_xor_b32_e32 v3, v8, v6
	v_xor_b32_e32 v1, v9, v6
	v_mad_u64_u32 v[8:9], s[2:3], v3, s20, 0
	v_mul_hi_u32 v12, v3, s41
	v_lshl_add_u64 v[8:9], v[12:13], 0, v[8:9]
	v_mad_u64_u32 v[16:17], s[2:3], v1, s41, 0
	v_add_co_u32_e32 v7, vcc, v8, v16
	v_mad_u64_u32 v[12:13], s[2:3], v1, s20, 0
	s_nop 0
	v_addc_co_u32_e32 v8, vcc, v9, v17, vcc
	v_mov_b32_e32 v9, v10
	s_nop 0
	v_addc_co_u32_e32 v13, vcc, 0, v13, vcc
	v_lshl_add_u64 v[8:9], v[8:9], 0, v[12:13]
	v_mul_lo_u32 v7, s43, v8
	v_mul_lo_u32 v12, s42, v9
	v_mad_u64_u32 v[10:11], s[2:3], s42, v8, 0
	v_add3_u32 v7, v11, v12, v7
	v_sub_u32_e32 v11, v1, v7
	v_mov_b32_e32 v12, s43
	v_sub_co_u32_e32 v3, vcc, v3, v10
	s_nop 1
	v_subb_co_u32_e64 v10, s[2:3], v11, v12, vcc
	v_subrev_co_u32_e64 v11, s[2:3], s42, v3
	v_subb_co_u32_e32 v1, vcc, v1, v7, vcc
	s_nop 0
	v_subbrev_co_u32_e64 v10, s[2:3], 0, v10, s[2:3]
	v_cmp_le_u32_e64 s[2:3], s43, v10
	v_cmp_le_u32_e32 vcc, s43, v1
	s_nop 0
	v_cndmask_b32_e64 v12, 0, -1, s[2:3]
	v_cmp_le_u32_e64 s[2:3], s42, v11
	v_cndmask_b32_e64 v7, 0, -1, vcc
	v_cmp_le_u32_e32 vcc, s42, v3
	v_cndmask_b32_e64 v11, 0, -1, s[2:3]
	v_cmp_eq_u32_e64 s[2:3], s43, v10
	v_cndmask_b32_e64 v3, 0, -1, vcc
	v_cmp_eq_u32_e32 vcc, s43, v1
	v_cndmask_b32_e64 v15, v12, v11, s[2:3]
	v_lshl_add_u64 v[10:11], v[8:9], 0, 2
	v_lshl_add_u64 v[12:13], v[8:9], 0, 1
	v_cmp_ne_u32_e64 s[2:3], 0, v15
	v_cndmask_b32_e32 v1, v7, v3, vcc
	v_cmp_ne_u32_e32 vcc, 0, v1
	v_cndmask_b32_e64 v3, v12, v10, s[2:3]
	v_cndmask_b32_e64 v11, v13, v11, s[2:3]
	v_cndmask_b32_e32 v3, v8, v3, vcc
	v_xor_b32_e32 v7, s40, v6
	v_cndmask_b32_e32 v1, v9, v11, vcc
	v_xor_b32_e32 v3, v3, v7
	v_xor_b32_e32 v1, v1, v7
	v_sub_co_u32_e32 v6, vcc, v3, v7
                                        ; implicit-def: $vgpr8
	s_nop 1
	v_subb_co_u32_e32 v7, vcc, v1, v7, vcc
.LBB3_74:
	s_andn2_saveexec_b64 s[2:3], s[38:39]
	s_cbranch_execz .LBB3_76
; %bb.75:
	v_cvt_f32_u32_e32 v1, s12
	s_sub_i32 s20, 0, s12
	v_rcp_iflag_f32_e32 v1, v1
	s_nop 0
	v_mul_f32_e32 v1, 0x4f7ffffe, v1
	v_cvt_u32_f32_e32 v1, v1
	v_mul_lo_u32 v3, s20, v1
	v_mul_hi_u32 v3, v1, v3
	v_add_u32_e32 v1, v1, v3
	v_mul_hi_u32 v1, v8, v1
	v_mul_lo_u32 v3, v1, s12
	v_sub_u32_e32 v3, v8, v3
	v_add_u32_e32 v6, 1, v1
	v_subrev_u32_e32 v7, s12, v3
	v_cmp_le_u32_e32 vcc, s12, v3
	s_nop 1
	v_cndmask_b32_e32 v3, v3, v7, vcc
	v_cndmask_b32_e32 v1, v1, v6, vcc
	v_add_u32_e32 v6, 1, v1
	v_cmp_le_u32_e32 vcc, s12, v3
	v_mov_b32_e32 v7, 0
	s_nop 0
	v_cndmask_b32_e32 v6, v1, v6, vcc
.LBB3_76:
	s_or_b64 exec, exec, s[2:3]
.LBB3_77:
	s_or_b64 exec, exec, s[36:37]
	v_or_b32_e32 v9, s13, v5
	v_mov_b32_e32 v8, 0
	v_cmp_ne_u64_e32 vcc, 0, v[8:9]
                                        ; implicit-def: $vgpr10_vgpr11
	s_and_saveexec_b64 s[2:3], vcc
	s_xor_b64 s[36:37], exec, s[2:3]
	s_cbranch_execz .LBB3_79
; %bb.78:
	s_ashr_i32 s38, s13, 31
	s_add_u32 s2, s12, s38
	s_mov_b32 s39, s38
	s_addc_u32 s3, s13, s38
	s_xor_b64 s[40:41], s[2:3], s[38:39]
	v_cvt_f32_u32_e32 v1, s40
	v_cvt_f32_u32_e32 v3, s41
	s_sub_u32 s20, 0, s40
	s_subb_u32 s39, 0, s41
	v_ashrrev_i32_e32 v10, 31, v5
	v_fmamk_f32 v1, v3, 0x4f800000, v1
	v_rcp_f32_e32 v1, v1
	v_mov_b32_e32 v11, v10
	v_lshl_add_u64 v[12:13], v[4:5], 0, v[10:11]
	v_mov_b32_e32 v17, v8
	v_mul_f32_e32 v1, 0x5f7ffffc, v1
	v_mul_f32_e32 v3, 0x2f800000, v1
	v_trunc_f32_e32 v3, v3
	v_fmamk_f32 v1, v3, 0xcf800000, v1
	v_cvt_u32_f32_e32 v3, v3
	v_cvt_u32_f32_e32 v1, v1
	v_readfirstlane_b32 s42, v3
	v_readfirstlane_b32 s2, v1
	s_mul_i32 s3, s20, s42
	s_mul_hi_u32 s44, s20, s2
	s_mul_i32 s43, s39, s2
	s_add_i32 s3, s44, s3
	s_add_i32 s3, s3, s43
	s_mul_i32 s45, s20, s2
	s_mul_i32 s44, s2, s3
	s_mul_hi_u32 s46, s2, s45
	s_mul_hi_u32 s43, s2, s3
	s_add_u32 s44, s46, s44
	s_addc_u32 s43, 0, s43
	s_mul_hi_u32 s47, s42, s45
	s_mul_i32 s45, s42, s45
	s_add_u32 s44, s44, s45
	s_mul_hi_u32 s46, s42, s3
	s_addc_u32 s43, s43, s47
	s_addc_u32 s44, s46, 0
	s_mul_i32 s3, s42, s3
	s_add_u32 s3, s43, s3
	s_addc_u32 s43, 0, s44
	s_add_u32 s44, s2, s3
	s_cselect_b64 s[2:3], -1, 0
	s_cmp_lg_u64 s[2:3], 0
	s_addc_u32 s42, s42, s43
	s_mul_i32 s2, s20, s42
	s_mul_hi_u32 s3, s20, s44
	s_add_i32 s2, s3, s2
	s_mul_i32 s39, s39, s44
	s_add_i32 s2, s2, s39
	s_mul_i32 s20, s20, s44
	s_mul_hi_u32 s39, s42, s20
	s_mul_i32 s43, s42, s20
	s_mul_i32 s46, s44, s2
	s_mul_hi_u32 s20, s44, s20
	s_mul_hi_u32 s45, s44, s2
	s_add_u32 s20, s20, s46
	s_addc_u32 s45, 0, s45
	s_add_u32 s20, s20, s43
	s_mul_hi_u32 s3, s42, s2
	s_addc_u32 s20, s45, s39
	s_addc_u32 s3, s3, 0
	s_mul_i32 s2, s42, s2
	s_add_u32 s2, s20, s2
	s_addc_u32 s20, 0, s3
	s_add_u32 s39, s44, s2
	s_cselect_b64 s[2:3], -1, 0
	s_cmp_lg_u64 s[2:3], 0
	s_addc_u32 s20, s42, s20
	v_xor_b32_e32 v3, v12, v10
	v_xor_b32_e32 v1, v13, v10
	v_mad_u64_u32 v[12:13], s[2:3], v3, s20, 0
	v_mul_hi_u32 v16, v3, s39
	v_lshl_add_u64 v[12:13], v[16:17], 0, v[12:13]
	v_mad_u64_u32 v[18:19], s[2:3], v1, s39, 0
	v_add_co_u32_e32 v9, vcc, v12, v18
	v_mad_u64_u32 v[16:17], s[2:3], v1, s20, 0
	s_nop 0
	v_addc_co_u32_e32 v12, vcc, v13, v19, vcc
	v_mov_b32_e32 v13, v8
	s_nop 0
	v_addc_co_u32_e32 v17, vcc, 0, v17, vcc
	v_lshl_add_u64 v[8:9], v[12:13], 0, v[16:17]
	v_mul_lo_u32 v11, s41, v8
	v_mul_lo_u32 v15, s40, v9
	v_mad_u64_u32 v[12:13], s[2:3], s40, v8, 0
	v_add3_u32 v11, v13, v15, v11
	v_sub_u32_e32 v13, v1, v11
	v_mov_b32_e32 v15, s41
	v_sub_co_u32_e32 v3, vcc, v3, v12
	v_lshl_add_u64 v[16:17], v[8:9], 0, 1
	s_nop 0
	v_subb_co_u32_e64 v12, s[2:3], v13, v15, vcc
	v_subrev_co_u32_e64 v13, s[2:3], s40, v3
	v_subb_co_u32_e32 v1, vcc, v1, v11, vcc
	s_nop 0
	v_subbrev_co_u32_e64 v12, s[2:3], 0, v12, s[2:3]
	v_cmp_le_u32_e64 s[2:3], s41, v12
	v_cmp_le_u32_e32 vcc, s41, v1
	s_nop 0
	v_cndmask_b32_e64 v15, 0, -1, s[2:3]
	v_cmp_le_u32_e64 s[2:3], s40, v13
	v_cndmask_b32_e64 v11, 0, -1, vcc
	v_cmp_le_u32_e32 vcc, s40, v3
	v_cndmask_b32_e64 v13, 0, -1, s[2:3]
	v_cmp_eq_u32_e64 s[2:3], s41, v12
	v_cndmask_b32_e64 v3, 0, -1, vcc
	v_cmp_eq_u32_e32 vcc, s41, v1
	v_cndmask_b32_e64 v15, v15, v13, s[2:3]
	v_lshl_add_u64 v[12:13], v[8:9], 0, 2
	v_cmp_ne_u32_e64 s[2:3], 0, v15
	v_cndmask_b32_e32 v1, v11, v3, vcc
	v_cmp_ne_u32_e32 vcc, 0, v1
	v_cndmask_b32_e64 v3, v16, v12, s[2:3]
	v_cndmask_b32_e64 v13, v17, v13, s[2:3]
	v_cndmask_b32_e32 v3, v8, v3, vcc
	v_xor_b32_e32 v8, s38, v10
	v_cndmask_b32_e32 v1, v9, v13, vcc
	v_xor_b32_e32 v3, v3, v8
	v_xor_b32_e32 v1, v1, v8
	v_sub_co_u32_e32 v10, vcc, v3, v8
	s_nop 1
	v_subb_co_u32_e32 v11, vcc, v1, v8, vcc
.LBB3_79:
	s_andn2_saveexec_b64 s[2:3], s[36:37]
	s_cbranch_execz .LBB3_81
; %bb.80:
	v_cvt_f32_u32_e32 v1, s12
	s_sub_i32 s20, 0, s12
	v_mov_b32_e32 v11, 0
	v_rcp_iflag_f32_e32 v1, v1
	s_nop 0
	v_mul_f32_e32 v1, 0x4f7ffffe, v1
	v_cvt_u32_f32_e32 v1, v1
	v_mul_lo_u32 v3, s20, v1
	v_mul_hi_u32 v3, v1, v3
	v_add_u32_e32 v1, v1, v3
	v_mul_hi_u32 v1, v4, v1
	v_mul_lo_u32 v3, v1, s12
	v_sub_u32_e32 v3, v4, v3
	v_add_u32_e32 v8, 1, v1
	v_subrev_u32_e32 v9, s12, v3
	v_cmp_le_u32_e32 vcc, s12, v3
	s_nop 1
	v_cndmask_b32_e32 v3, v3, v9, vcc
	v_cndmask_b32_e32 v1, v1, v8, vcc
	v_add_u32_e32 v8, 1, v1
	v_cmp_le_u32_e32 vcc, s12, v3
	s_nop 1
	v_cndmask_b32_e32 v10, v1, v8, vcc
.LBB3_81:
	s_or_b64 exec, exec, s[2:3]
	v_mul_lo_u32 v1, v7, s12
	v_mul_lo_u32 v3, v6, s13
	v_mad_u64_u32 v[8:9], s[2:3], v6, s12, 0
	v_add3_u32 v9, v9, v3, v1
	v_cmp_gt_i64_e32 vcc, v[8:9], v[4:5]
	v_mov_b64_e32 v[8:9], s[10:11]
	v_mad_u64_u32 v[8:9], s[2:3], v6, s12, v[8:9]
	v_add3_u32 v9, v1, v9, v3
	v_cmp_ge_i64_e64 s[2:3], v[4:5], v[8:9]
	s_or_b64 s[2:3], vcc, s[2:3]
	v_mov_b32_e32 v1, s15
	v_cndmask_b32_e64 v8, 0, 1, s[2:3]
	s_mov_b32 s2, 0
	v_mov_b32_e32 v9, s2
	v_cmp_gt_i64_e32 vcc, s[14:15], v[10:11]
	v_lshl_add_u64 v[12:13], v[6:7], 0, v[8:9]
	s_nop 0
	v_cndmask_b32_e32 v7, v1, v11, vcc
	v_mov_b32_e32 v1, s14
	v_cndmask_b32_e32 v6, v1, v10, vcc
	v_cmp_le_i64_e32 vcc, v[12:13], v[6:7]
	s_and_saveexec_b64 s[2:3], vcc
	s_cbranch_execz .LBB3_84
; %bb.82:
	global_load_dwordx2 v[8:9], v2, s[4:5]
	v_mul_lo_u32 v15, s13, v12
	v_mul_lo_u32 v18, s12, v13
	v_mad_u64_u32 v[16:17], s[36:37], s12, v12, 0
	v_add3_u32 v15, v17, v18, v15
	v_sub_co_u32_e32 v4, vcc, v4, v16
	v_mov_b32_e32 v3, 0
	s_nop 0
	v_subb_co_u32_e32 v5, vcc, v5, v15, vcc
	v_mul_lo_u32 v15, s19, v4
	v_mul_lo_u32 v16, s18, v5
	v_mad_u64_u32 v[4:5], s[36:37], s18, v4, 0
	v_lshl_add_u64 v[10:11], s[4:5], 0, v[2:3]
	v_mov_b32_e32 v1, v3
	v_lshl_add_u64 v[2:3], v[12:13], 0, -1
	v_add3_u32 v5, v5, v16, v15
	v_mul_lo_u32 v15, s17, v12
	v_mul_lo_u32 v16, s16, v13
	v_mad_u64_u32 v[12:13], s[36:37], s16, v12, 0
	s_mul_i32 s20, s12, s19
	s_mul_hi_u32 s38, s12, s18
	v_add3_u32 v13, v13, v16, v15
	s_add_i32 s20, s38, s20
	s_mul_i32 s38, s13, s18
	v_lshlrev_b64 v[12:13], 3, v[12:13]
	s_add_i32 s39, s20, s38
	s_mul_i32 s38, s12, s18
	v_lshl_add_u64 v[4:5], v[4:5], 3, v[12:13]
	s_lshl_b64 s[36:37], s[16:17], 3
	s_lshl_b64 s[38:39], s[38:39], 3
	v_lshl_add_u64 v[0:1], v[4:5], 0, v[0:1]
	s_sub_u32 s36, s36, s38
	v_lshl_add_u64 v[0:1], s[6:7], 0, v[0:1]
	s_subb_u32 s37, s37, s39
	s_mov_b64 s[38:39], 0
.LBB3_83:                               ; =>This Inner Loop Header: Depth=1
	global_load_dwordx2 v[4:5], v[0:1], off
	v_lshl_add_u64 v[2:3], v[2:3], 0, 1
	v_cmp_ge_i64_e32 vcc, v[2:3], v[6:7]
	v_lshl_add_u64 v[0:1], v[0:1], 0, s[36:37]
	s_or_b64 s[38:39], vcc, s[38:39]
	s_waitcnt vmcnt(0)
	v_lshl_add_u64 v[8:9], v[4:5], 0, v[8:9]
	global_store_dwordx2 v[10:11], v[8:9], off
	s_andn2_b64 exec, exec, s[38:39]
	s_cbranch_execnz .LBB3_83
.LBB3_84:
	s_or_b64 exec, exec, s[2:3]
	v_add_u32_e32 v14, 0x100, v14
	s_or_b64 exec, exec, s[66:67]
	v_cmp_gt_i32_e32 vcc, s70, v14
	s_and_saveexec_b64 s[2:3], vcc
	s_cbranch_execz .LBB3_111
.LBB3_85:
	s_and_b64 vcc, exec, s[0:1]
	s_cbranch_vccnz .LBB3_91
; %bb.86:
	v_mov_b32_e32 v4, 0
	s_andn2_b64 vcc, exec, s[64:65]
	v_mov_b32_e32 v0, 0
	v_mov_b32_e32 v2, 0
	s_cbranch_vccnz .LBB3_95
; %bb.87:
	s_add_i32 s69, s69, 1
	s_cmp_eq_u32 s68, 2
	s_cbranch_scc1 .LBB3_92
; %bb.88:
	s_and_b32 s20, s69, 28
	v_mov_b32_e32 v2, 0
	s_mov_b32 s56, 0
	v_mov_b32_e32 v6, v14
	v_mov_b32_e32 v0, 0
	;; [unrolled: 1-line block ×3, first 2 shown]
.LBB3_89:                               ; =>This Inner Loop Header: Depth=1
	s_load_dwordx8 s[36:43], s[62:63], 0x0
	s_load_dwordx4 s[0:3], s[62:63], 0x20
	s_load_dwordx4 s[52:55], s[62:63], 0xe0
	s_load_dwordx8 s[44:51], s[62:63], 0xc0
	s_add_i32 s56, s56, 4
	s_waitcnt lgkmcnt(0)
	v_mul_hi_u32 v1, s37, v6
	v_add_u32_e32 v1, v6, v1
	v_lshrrev_b32_e32 v1, s38, v1
	v_mul_hi_u32 v5, s40, v1
	v_add_u32_e32 v5, v1, v5
	v_lshrrev_b32_e32 v5, s41, v5
	v_mul_lo_u32 v3, v1, s36
	v_mul_lo_u32 v8, v5, s39
	v_mul_hi_u32 v9, s43, v5
	v_sub_u32_e32 v3, v6, v3
	v_sub_u32_e32 v1, v1, v8
	v_add_u32_e32 v8, v5, v9
	v_mul_lo_u32 v6, v3, s44
	v_mul_lo_u32 v7, v3, s46
	v_mul_lo_u32 v3, v3, s45
	v_mul_lo_u32 v9, v1, s47
	v_mul_lo_u32 v10, v1, s49
	v_mul_lo_u32 v1, v1, s48
	v_lshrrev_b32_e32 v8, s0, v8
	v_add3_u32 v0, v3, v0, v1
	v_add3_u32 v1, v7, v4, v10
	v_mul_hi_u32 v4, s2, v8
	v_add_u32_e32 v4, v8, v4
	v_add3_u32 v2, v6, v2, v9
	v_lshrrev_b32_e32 v6, s3, v4
	v_mul_lo_u32 v3, v8, s42
	v_mul_lo_u32 v4, v6, s1
	s_add_u32 s62, s62, 48
	v_sub_u32_e32 v3, v5, v3
	v_sub_u32_e32 v4, v8, v4
	s_addc_u32 s63, s63, 0
	v_mul_lo_u32 v5, v3, s50
	v_mul_lo_u32 v7, v3, s51
	;; [unrolled: 1-line block ×6, first 2 shown]
	s_cmp_eq_u32 s20, s56
	v_add3_u32 v2, v5, v2, v8
	v_add3_u32 v4, v3, v1, v4
	;; [unrolled: 1-line block ×3, first 2 shown]
	s_cbranch_scc0 .LBB3_89
; %bb.90:
	v_mov_b32_e32 v1, v4
	s_and_b32 s2, s69, 3
	s_cmp_eq_u32 s2, 0
	s_cbranch_scc0 .LBB3_93
	s_branch .LBB3_95
.LBB3_91:
                                        ; implicit-def: $vgpr4
                                        ; implicit-def: $vgpr0
                                        ; implicit-def: $vgpr2
	s_branch .LBB3_96
.LBB3_92:
	v_mov_b32_e32 v0, 0
	s_mov_b32 s20, 0
	v_mov_b32_e32 v1, v0
                                        ; implicit-def: $vgpr4
	v_mov_b32_e32 v6, v14
	v_mov_b32_e32 v2, v0
	s_and_b32 s2, s69, 3
	s_cmp_eq_u32 s2, 0
	s_cbranch_scc1 .LBB3_95
.LBB3_93:
	s_mul_i32 s0, s20, 12
	s_add_u32 s0, s27, s0
	s_addc_u32 s1, s33, 0
	s_add_u32 s0, s0, 4
	s_addc_u32 s1, s1, 0
.LBB3_94:                               ; =>This Inner Loop Header: Depth=1
	s_load_dwordx2 s[36:37], s[0:1], 0x0
	s_load_dword s3, s[0:1], 0x8
	s_load_dwordx2 s[38:39], s[0:1], 0xc0
	s_load_dword s20, s[0:1], 0xc8
	v_mov_b32_e32 v4, v1
	s_waitcnt lgkmcnt(0)
	v_mul_hi_u32 v1, s37, v6
	v_add_u32_e32 v1, v6, v1
	v_lshrrev_b32_e32 v1, s3, v1
	v_mul_lo_u32 v3, v1, s36
	s_add_u32 s0, s0, 12
	v_sub_u32_e32 v7, v6, v3
	s_addc_u32 s1, s1, 0
	s_add_i32 s2, s2, -1
	v_mov_b32_e32 v6, v1
	v_mad_u64_u32 v[4:5], s[36:37], v7, s20, v[4:5]
	v_mad_u64_u32 v[0:1], s[36:37], v7, s39, v[0:1]
	s_cmp_lg_u32 s2, 0
	v_mad_u64_u32 v[2:3], s[36:37], v7, s38, v[2:3]
	v_mov_b32_e32 v1, v4
	s_cbranch_scc1 .LBB3_94
.LBB3_95:
	s_cbranch_execnz .LBB3_98
.LBB3_96:
	v_mul_hi_u32 v0, s22, v14
	v_add_u32_e32 v0, v14, v0
	v_lshrrev_b32_e32 v1, s23, v0
	v_mul_lo_u32 v0, v1, s21
	v_sub_u32_e32 v0, v14, v0
	v_mul_lo_u32 v2, v0, s28
	v_mul_lo_u32 v4, v0, s30
	s_andn2_b64 vcc, exec, s[60:61]
	v_mul_lo_u32 v0, v0, s29
	s_cbranch_vccnz .LBB3_98
; %bb.97:
	v_mul_hi_u32 v3, s25, v1
	v_add_u32_e32 v3, v1, v3
	v_lshrrev_b32_e32 v3, s26, v3
	v_mul_lo_u32 v3, v3, s24
	v_sub_u32_e32 v5, v1, v3
	v_mad_u64_u32 v[2:3], s[0:1], v5, s31, v[2:3]
	v_mad_u64_u32 v[0:1], s[0:1], v5, s34, v[0:1]
	;; [unrolled: 1-line block ×3, first 2 shown]
.LBB3_98:
	global_load_dwordx2 v[4:5], v4, s[8:9]
	v_mov_b64_e32 v[6:7], 0
	s_waitcnt vmcnt(0)
	v_cmp_lt_i64_e32 vcc, s[10:11], v[4:5]
	s_and_saveexec_b64 s[2:3], vcc
	s_cbranch_execz .LBB3_104
; %bb.99:
	v_mov_b32_e32 v1, s11
	v_subrev_co_u32_e32 v8, vcc, s10, v4
	v_mov_b32_e32 v10, 0
	s_nop 0
	v_subb_co_u32_e32 v9, vcc, v5, v1, vcc
	v_or_b32_e32 v11, s13, v9
	v_cmp_ne_u64_e32 vcc, 0, v[10:11]
                                        ; implicit-def: $vgpr6_vgpr7
	s_and_saveexec_b64 s[0:1], vcc
	s_xor_b64 s[8:9], exec, s[0:1]
	s_cbranch_execz .LBB3_101
; %bb.100:
	s_ashr_i32 s20, s13, 31
	s_add_u32 s0, s12, s20
	s_mov_b32 s21, s20
	s_addc_u32 s1, s13, s20
	s_xor_b64 s[22:23], s[0:1], s[20:21]
	v_cvt_f32_u32_e32 v1, s22
	v_cvt_f32_u32_e32 v3, s23
	s_sub_u32 s21, 0, s22
	s_subb_u32 s24, 0, s23
	v_ashrrev_i32_e32 v6, 31, v9
	v_fmamk_f32 v1, v3, 0x4f800000, v1
	v_rcp_f32_e32 v1, v1
	v_mov_b32_e32 v7, v6
	v_lshl_add_u64 v[8:9], v[8:9], 0, v[6:7]
	v_mov_b32_e32 v13, v10
	v_mul_f32_e32 v1, 0x5f7ffffc, v1
	v_mul_f32_e32 v3, 0x2f800000, v1
	v_trunc_f32_e32 v3, v3
	v_fmamk_f32 v1, v3, 0xcf800000, v1
	v_cvt_u32_f32_e32 v3, v3
	v_cvt_u32_f32_e32 v1, v1
	v_readfirstlane_b32 s25, v3
	v_readfirstlane_b32 s0, v1
	s_mul_i32 s1, s21, s25
	s_mul_hi_u32 s27, s21, s0
	s_mul_i32 s26, s24, s0
	s_add_i32 s1, s27, s1
	s_add_i32 s1, s1, s26
	s_mul_i32 s28, s21, s0
	s_mul_i32 s27, s0, s1
	s_mul_hi_u32 s29, s0, s28
	s_mul_hi_u32 s26, s0, s1
	s_add_u32 s27, s29, s27
	s_addc_u32 s26, 0, s26
	s_mul_hi_u32 s30, s25, s28
	s_mul_i32 s28, s25, s28
	s_add_u32 s27, s27, s28
	s_mul_hi_u32 s29, s25, s1
	s_addc_u32 s26, s26, s30
	s_addc_u32 s27, s29, 0
	s_mul_i32 s1, s25, s1
	s_add_u32 s1, s26, s1
	s_addc_u32 s26, 0, s27
	s_add_u32 s27, s0, s1
	s_cselect_b64 s[0:1], -1, 0
	s_cmp_lg_u64 s[0:1], 0
	s_addc_u32 s25, s25, s26
	s_mul_i32 s0, s21, s25
	s_mul_hi_u32 s1, s21, s27
	s_add_i32 s0, s1, s0
	s_mul_i32 s24, s24, s27
	s_add_i32 s0, s0, s24
	s_mul_i32 s21, s21, s27
	s_mul_hi_u32 s24, s25, s21
	s_mul_i32 s26, s25, s21
	s_mul_i32 s29, s27, s0
	s_mul_hi_u32 s21, s27, s21
	s_mul_hi_u32 s28, s27, s0
	s_add_u32 s21, s21, s29
	s_addc_u32 s28, 0, s28
	s_add_u32 s21, s21, s26
	s_mul_hi_u32 s1, s25, s0
	s_addc_u32 s21, s28, s24
	s_addc_u32 s1, s1, 0
	s_mul_i32 s0, s25, s0
	s_add_u32 s0, s21, s0
	s_addc_u32 s21, 0, s1
	s_add_u32 s24, s27, s0
	s_cselect_b64 s[0:1], -1, 0
	s_cmp_lg_u64 s[0:1], 0
	s_addc_u32 s21, s25, s21
	v_xor_b32_e32 v3, v8, v6
	v_xor_b32_e32 v1, v9, v6
	v_mad_u64_u32 v[8:9], s[0:1], v3, s21, 0
	v_mul_hi_u32 v12, v3, s24
	v_lshl_add_u64 v[8:9], v[12:13], 0, v[8:9]
	v_mad_u64_u32 v[14:15], s[0:1], v1, s24, 0
	v_add_co_u32_e32 v7, vcc, v8, v14
	v_mad_u64_u32 v[12:13], s[0:1], v1, s21, 0
	s_nop 0
	v_addc_co_u32_e32 v8, vcc, v9, v15, vcc
	v_mov_b32_e32 v9, v10
	s_nop 0
	v_addc_co_u32_e32 v13, vcc, 0, v13, vcc
	v_lshl_add_u64 v[8:9], v[8:9], 0, v[12:13]
	v_mul_lo_u32 v7, s23, v8
	v_mul_lo_u32 v12, s22, v9
	v_mad_u64_u32 v[10:11], s[0:1], s22, v8, 0
	v_add3_u32 v7, v11, v12, v7
	v_sub_u32_e32 v11, v1, v7
	v_mov_b32_e32 v12, s23
	v_sub_co_u32_e32 v3, vcc, v3, v10
	s_nop 1
	v_subb_co_u32_e64 v10, s[0:1], v11, v12, vcc
	v_subrev_co_u32_e64 v11, s[0:1], s22, v3
	v_subb_co_u32_e32 v1, vcc, v1, v7, vcc
	s_nop 0
	v_subbrev_co_u32_e64 v10, s[0:1], 0, v10, s[0:1]
	v_cmp_le_u32_e64 s[0:1], s23, v10
	v_cmp_le_u32_e32 vcc, s23, v1
	s_nop 0
	v_cndmask_b32_e64 v12, 0, -1, s[0:1]
	v_cmp_le_u32_e64 s[0:1], s22, v11
	v_cndmask_b32_e64 v7, 0, -1, vcc
	v_cmp_le_u32_e32 vcc, s22, v3
	v_cndmask_b32_e64 v11, 0, -1, s[0:1]
	v_cmp_eq_u32_e64 s[0:1], s23, v10
	v_cndmask_b32_e64 v3, 0, -1, vcc
	v_cmp_eq_u32_e32 vcc, s23, v1
	v_cndmask_b32_e64 v14, v12, v11, s[0:1]
	v_lshl_add_u64 v[10:11], v[8:9], 0, 2
	v_lshl_add_u64 v[12:13], v[8:9], 0, 1
	v_cmp_ne_u32_e64 s[0:1], 0, v14
	v_cndmask_b32_e32 v1, v7, v3, vcc
	v_cmp_ne_u32_e32 vcc, 0, v1
	v_cndmask_b32_e64 v3, v12, v10, s[0:1]
	v_cndmask_b32_e64 v11, v13, v11, s[0:1]
	v_cndmask_b32_e32 v3, v8, v3, vcc
	v_xor_b32_e32 v7, s20, v6
	v_cndmask_b32_e32 v1, v9, v11, vcc
	v_xor_b32_e32 v3, v3, v7
	v_xor_b32_e32 v1, v1, v7
	v_sub_co_u32_e32 v6, vcc, v3, v7
                                        ; implicit-def: $vgpr8
	s_nop 1
	v_subb_co_u32_e32 v7, vcc, v1, v7, vcc
.LBB3_101:
	s_andn2_saveexec_b64 s[0:1], s[8:9]
	s_cbranch_execz .LBB3_103
; %bb.102:
	v_cvt_f32_u32_e32 v1, s12
	s_sub_i32 s8, 0, s12
	v_rcp_iflag_f32_e32 v1, v1
	s_nop 0
	v_mul_f32_e32 v1, 0x4f7ffffe, v1
	v_cvt_u32_f32_e32 v1, v1
	v_mul_lo_u32 v3, s8, v1
	v_mul_hi_u32 v3, v1, v3
	v_add_u32_e32 v1, v1, v3
	v_mul_hi_u32 v1, v8, v1
	v_mul_lo_u32 v3, v1, s12
	v_sub_u32_e32 v3, v8, v3
	v_add_u32_e32 v6, 1, v1
	v_subrev_u32_e32 v7, s12, v3
	v_cmp_le_u32_e32 vcc, s12, v3
	s_nop 1
	v_cndmask_b32_e32 v3, v3, v7, vcc
	v_cndmask_b32_e32 v1, v1, v6, vcc
	v_add_u32_e32 v6, 1, v1
	v_cmp_le_u32_e32 vcc, s12, v3
	v_mov_b32_e32 v7, 0
	s_nop 0
	v_cndmask_b32_e32 v6, v1, v6, vcc
.LBB3_103:
	s_or_b64 exec, exec, s[0:1]
.LBB3_104:
	s_or_b64 exec, exec, s[2:3]
	v_or_b32_e32 v9, s13, v5
	v_mov_b32_e32 v8, 0
	v_cmp_ne_u64_e32 vcc, 0, v[8:9]
                                        ; implicit-def: $vgpr10_vgpr11
	s_and_saveexec_b64 s[0:1], vcc
	s_xor_b64 s[2:3], exec, s[0:1]
	s_cbranch_execz .LBB3_106
; %bb.105:
	s_ashr_i32 s8, s13, 31
	s_add_u32 s0, s12, s8
	s_mov_b32 s9, s8
	s_addc_u32 s1, s13, s8
	s_xor_b64 s[20:21], s[0:1], s[8:9]
	v_cvt_f32_u32_e32 v1, s20
	v_cvt_f32_u32_e32 v3, s21
	s_sub_u32 s9, 0, s20
	s_subb_u32 s22, 0, s21
	v_ashrrev_i32_e32 v10, 31, v5
	v_fmamk_f32 v1, v3, 0x4f800000, v1
	v_rcp_f32_e32 v1, v1
	v_mov_b32_e32 v11, v10
	v_lshl_add_u64 v[12:13], v[4:5], 0, v[10:11]
	v_mov_b32_e32 v15, v8
	v_mul_f32_e32 v1, 0x5f7ffffc, v1
	v_mul_f32_e32 v3, 0x2f800000, v1
	v_trunc_f32_e32 v3, v3
	v_fmamk_f32 v1, v3, 0xcf800000, v1
	v_cvt_u32_f32_e32 v3, v3
	v_cvt_u32_f32_e32 v1, v1
	v_readfirstlane_b32 s23, v3
	v_readfirstlane_b32 s0, v1
	s_mul_i32 s1, s9, s23
	s_mul_hi_u32 s25, s9, s0
	s_mul_i32 s24, s22, s0
	s_add_i32 s1, s25, s1
	s_add_i32 s1, s1, s24
	s_mul_i32 s26, s9, s0
	s_mul_i32 s25, s0, s1
	s_mul_hi_u32 s27, s0, s26
	s_mul_hi_u32 s24, s0, s1
	s_add_u32 s25, s27, s25
	s_addc_u32 s24, 0, s24
	s_mul_hi_u32 s28, s23, s26
	s_mul_i32 s26, s23, s26
	s_add_u32 s25, s25, s26
	s_mul_hi_u32 s27, s23, s1
	s_addc_u32 s24, s24, s28
	s_addc_u32 s25, s27, 0
	s_mul_i32 s1, s23, s1
	s_add_u32 s1, s24, s1
	s_addc_u32 s24, 0, s25
	s_add_u32 s25, s0, s1
	s_cselect_b64 s[0:1], -1, 0
	s_cmp_lg_u64 s[0:1], 0
	s_addc_u32 s23, s23, s24
	s_mul_i32 s0, s9, s23
	s_mul_hi_u32 s1, s9, s25
	s_add_i32 s0, s1, s0
	s_mul_i32 s22, s22, s25
	s_add_i32 s0, s0, s22
	s_mul_i32 s9, s9, s25
	s_mul_hi_u32 s22, s23, s9
	s_mul_i32 s24, s23, s9
	s_mul_i32 s27, s25, s0
	s_mul_hi_u32 s9, s25, s9
	s_mul_hi_u32 s26, s25, s0
	s_add_u32 s9, s9, s27
	s_addc_u32 s26, 0, s26
	s_add_u32 s9, s9, s24
	s_mul_hi_u32 s1, s23, s0
	s_addc_u32 s9, s26, s22
	s_addc_u32 s1, s1, 0
	s_mul_i32 s0, s23, s0
	s_add_u32 s0, s9, s0
	s_addc_u32 s9, 0, s1
	s_add_u32 s22, s25, s0
	s_cselect_b64 s[0:1], -1, 0
	s_cmp_lg_u64 s[0:1], 0
	s_addc_u32 s9, s23, s9
	v_xor_b32_e32 v3, v12, v10
	v_xor_b32_e32 v1, v13, v10
	v_mad_u64_u32 v[12:13], s[0:1], v3, s9, 0
	v_mul_hi_u32 v14, v3, s22
	v_lshl_add_u64 v[12:13], v[14:15], 0, v[12:13]
	v_mad_u64_u32 v[16:17], s[0:1], v1, s22, 0
	v_add_co_u32_e32 v9, vcc, v12, v16
	v_mad_u64_u32 v[14:15], s[0:1], v1, s9, 0
	s_nop 0
	v_addc_co_u32_e32 v12, vcc, v13, v17, vcc
	v_mov_b32_e32 v13, v8
	s_nop 0
	v_addc_co_u32_e32 v15, vcc, 0, v15, vcc
	v_lshl_add_u64 v[8:9], v[12:13], 0, v[14:15]
	v_mul_lo_u32 v11, s21, v8
	v_mul_lo_u32 v14, s20, v9
	v_mad_u64_u32 v[12:13], s[0:1], s20, v8, 0
	v_add3_u32 v11, v13, v14, v11
	v_sub_u32_e32 v13, v1, v11
	v_mov_b32_e32 v14, s21
	v_sub_co_u32_e32 v3, vcc, v3, v12
	s_nop 1
	v_subb_co_u32_e64 v12, s[0:1], v13, v14, vcc
	v_subrev_co_u32_e64 v13, s[0:1], s20, v3
	v_subb_co_u32_e32 v1, vcc, v1, v11, vcc
	s_nop 0
	v_subbrev_co_u32_e64 v12, s[0:1], 0, v12, s[0:1]
	v_cmp_le_u32_e64 s[0:1], s21, v12
	v_cmp_le_u32_e32 vcc, s21, v1
	s_nop 0
	v_cndmask_b32_e64 v14, 0, -1, s[0:1]
	v_cmp_le_u32_e64 s[0:1], s20, v13
	v_cndmask_b32_e64 v11, 0, -1, vcc
	v_cmp_le_u32_e32 vcc, s20, v3
	v_cndmask_b32_e64 v13, 0, -1, s[0:1]
	v_cmp_eq_u32_e64 s[0:1], s21, v12
	v_cndmask_b32_e64 v3, 0, -1, vcc
	v_cmp_eq_u32_e32 vcc, s21, v1
	v_cndmask_b32_e64 v16, v14, v13, s[0:1]
	v_lshl_add_u64 v[12:13], v[8:9], 0, 2
	v_lshl_add_u64 v[14:15], v[8:9], 0, 1
	v_cmp_ne_u32_e64 s[0:1], 0, v16
	v_cndmask_b32_e32 v1, v11, v3, vcc
	v_cmp_ne_u32_e32 vcc, 0, v1
	v_cndmask_b32_e64 v3, v14, v12, s[0:1]
	v_cndmask_b32_e64 v13, v15, v13, s[0:1]
	v_cndmask_b32_e32 v3, v8, v3, vcc
	v_xor_b32_e32 v8, s8, v10
	v_cndmask_b32_e32 v1, v9, v13, vcc
	v_xor_b32_e32 v3, v3, v8
	v_xor_b32_e32 v1, v1, v8
	v_sub_co_u32_e32 v10, vcc, v3, v8
	s_nop 1
	v_subb_co_u32_e32 v11, vcc, v1, v8, vcc
.LBB3_106:
	s_andn2_saveexec_b64 s[0:1], s[2:3]
	s_cbranch_execz .LBB3_108
; %bb.107:
	v_cvt_f32_u32_e32 v1, s12
	s_sub_i32 s2, 0, s12
	v_mov_b32_e32 v11, 0
	v_rcp_iflag_f32_e32 v1, v1
	s_nop 0
	v_mul_f32_e32 v1, 0x4f7ffffe, v1
	v_cvt_u32_f32_e32 v1, v1
	v_mul_lo_u32 v3, s2, v1
	v_mul_hi_u32 v3, v1, v3
	v_add_u32_e32 v1, v1, v3
	v_mul_hi_u32 v1, v4, v1
	v_mul_lo_u32 v3, v1, s12
	v_sub_u32_e32 v3, v4, v3
	v_add_u32_e32 v8, 1, v1
	v_subrev_u32_e32 v9, s12, v3
	v_cmp_le_u32_e32 vcc, s12, v3
	s_nop 1
	v_cndmask_b32_e32 v3, v3, v9, vcc
	v_cndmask_b32_e32 v1, v1, v8, vcc
	v_add_u32_e32 v8, 1, v1
	v_cmp_le_u32_e32 vcc, s12, v3
	s_nop 1
	v_cndmask_b32_e32 v10, v1, v8, vcc
.LBB3_108:
	s_or_b64 exec, exec, s[0:1]
	v_mul_lo_u32 v1, v7, s12
	v_mul_lo_u32 v3, v6, s13
	v_mad_u64_u32 v[8:9], s[0:1], v6, s12, 0
	v_add3_u32 v9, v9, v3, v1
	v_cmp_gt_i64_e32 vcc, v[8:9], v[4:5]
	v_mov_b64_e32 v[8:9], s[10:11]
	v_mad_u64_u32 v[8:9], s[0:1], v6, s12, v[8:9]
	v_add3_u32 v9, v1, v9, v3
	v_cmp_ge_i64_e64 s[0:1], v[4:5], v[8:9]
	s_or_b64 s[0:1], vcc, s[0:1]
	v_mov_b32_e32 v1, s15
	v_cndmask_b32_e64 v8, 0, 1, s[0:1]
	s_mov_b32 s0, 0
	v_mov_b32_e32 v9, s0
	v_cmp_gt_i64_e32 vcc, s[14:15], v[10:11]
	v_lshl_add_u64 v[12:13], v[6:7], 0, v[8:9]
	s_nop 0
	v_cndmask_b32_e32 v7, v1, v11, vcc
	v_mov_b32_e32 v1, s14
	v_cndmask_b32_e32 v6, v1, v10, vcc
	v_cmp_le_i64_e32 vcc, v[12:13], v[6:7]
	s_and_b64 exec, exec, vcc
	s_cbranch_execz .LBB3_111
; %bb.109:
	global_load_dwordx2 v[8:9], v2, s[4:5]
	v_mul_lo_u32 v16, s13, v12
	v_mul_lo_u32 v17, s12, v13
	v_mad_u64_u32 v[14:15], s[0:1], s12, v12, 0
	v_add3_u32 v15, v15, v17, v16
	v_sub_co_u32_e32 v4, vcc, v4, v14
	v_mov_b32_e32 v3, 0
	s_nop 0
	v_subb_co_u32_e32 v5, vcc, v5, v15, vcc
	v_mul_lo_u32 v14, s19, v4
	v_mul_lo_u32 v15, s18, v5
	v_mad_u64_u32 v[4:5], s[0:1], s18, v4, 0
	v_lshl_add_u64 v[10:11], s[4:5], 0, v[2:3]
	v_mov_b32_e32 v1, v3
	v_lshl_add_u64 v[2:3], v[12:13], 0, -1
	v_add3_u32 v5, v5, v15, v14
	v_mul_lo_u32 v14, s17, v12
	v_mul_lo_u32 v15, s16, v13
	v_mad_u64_u32 v[12:13], s[0:1], s16, v12, 0
	s_mul_i32 s2, s12, s19
	s_mul_hi_u32 s3, s12, s18
	v_add3_u32 v13, v13, v15, v14
	s_add_i32 s2, s3, s2
	s_mul_i32 s3, s13, s18
	v_lshlrev_b64 v[12:13], 3, v[12:13]
	s_add_i32 s3, s2, s3
	s_mul_i32 s2, s12, s18
	v_lshl_add_u64 v[4:5], v[4:5], 3, v[12:13]
	s_lshl_b64 s[0:1], s[16:17], 3
	s_lshl_b64 s[2:3], s[2:3], 3
	v_lshl_add_u64 v[0:1], v[4:5], 0, v[0:1]
	s_sub_u32 s0, s0, s2
	v_lshl_add_u64 v[0:1], s[6:7], 0, v[0:1]
	s_subb_u32 s1, s1, s3
	s_mov_b64 s[2:3], 0
.LBB3_110:                              ; =>This Inner Loop Header: Depth=1
	global_load_dwordx2 v[4:5], v[0:1], off
	v_lshl_add_u64 v[2:3], v[2:3], 0, 1
	v_cmp_ge_i64_e32 vcc, v[2:3], v[6:7]
	v_lshl_add_u64 v[0:1], v[0:1], 0, s[0:1]
	s_or_b64 s[2:3], vcc, s[2:3]
	s_waitcnt vmcnt(0)
	v_lshl_add_u64 v[8:9], v[4:5], 0, v[8:9]
	global_store_dwordx2 v[10:11], v[8:9], off
	s_andn2_b64 exec, exec, s[2:3]
	s_cbranch_execnz .LBB3_110
.LBB3_111:
	s_endpgm
	.section	.rodata,"a",@progbits
	.p2align	6, 0x0
	.amdhsa_kernel _ZN2at6native12_GLOBAL__N_135_unfold_backward_elementwise_kernelILi256ELi4EZNS1_32_unfold_backward_internal_kernelIlEEvRNS_14TensorIteratorEllllllEUliE_EEviT1_
		.amdhsa_group_segment_fixed_size 0
		.amdhsa_private_segment_fixed_size 0
		.amdhsa_kernarg_size 464
		.amdhsa_user_sgpr_count 2
		.amdhsa_user_sgpr_dispatch_ptr 0
		.amdhsa_user_sgpr_queue_ptr 0
		.amdhsa_user_sgpr_kernarg_segment_ptr 1
		.amdhsa_user_sgpr_dispatch_id 0
		.amdhsa_user_sgpr_kernarg_preload_length 0
		.amdhsa_user_sgpr_kernarg_preload_offset 0
		.amdhsa_user_sgpr_private_segment_size 0
		.amdhsa_uses_dynamic_stack 0
		.amdhsa_enable_private_segment 0
		.amdhsa_system_sgpr_workgroup_id_x 1
		.amdhsa_system_sgpr_workgroup_id_y 0
		.amdhsa_system_sgpr_workgroup_id_z 0
		.amdhsa_system_sgpr_workgroup_info 0
		.amdhsa_system_vgpr_workitem_id 0
		.amdhsa_next_free_vgpr 20
		.amdhsa_next_free_sgpr 73
		.amdhsa_accum_offset 20
		.amdhsa_reserve_vcc 1
		.amdhsa_float_round_mode_32 0
		.amdhsa_float_round_mode_16_64 0
		.amdhsa_float_denorm_mode_32 3
		.amdhsa_float_denorm_mode_16_64 3
		.amdhsa_dx10_clamp 1
		.amdhsa_ieee_mode 1
		.amdhsa_fp16_overflow 0
		.amdhsa_tg_split 0
		.amdhsa_exception_fp_ieee_invalid_op 0
		.amdhsa_exception_fp_denorm_src 0
		.amdhsa_exception_fp_ieee_div_zero 0
		.amdhsa_exception_fp_ieee_overflow 0
		.amdhsa_exception_fp_ieee_underflow 0
		.amdhsa_exception_fp_ieee_inexact 0
		.amdhsa_exception_int_div_zero 0
	.end_amdhsa_kernel
	.section	.text._ZN2at6native12_GLOBAL__N_135_unfold_backward_elementwise_kernelILi256ELi4EZNS1_32_unfold_backward_internal_kernelIlEEvRNS_14TensorIteratorEllllllEUliE_EEviT1_,"axG",@progbits,_ZN2at6native12_GLOBAL__N_135_unfold_backward_elementwise_kernelILi256ELi4EZNS1_32_unfold_backward_internal_kernelIlEEvRNS_14TensorIteratorEllllllEUliE_EEviT1_,comdat
.Lfunc_end3:
	.size	_ZN2at6native12_GLOBAL__N_135_unfold_backward_elementwise_kernelILi256ELi4EZNS1_32_unfold_backward_internal_kernelIlEEvRNS_14TensorIteratorEllllllEUliE_EEviT1_, .Lfunc_end3-_ZN2at6native12_GLOBAL__N_135_unfold_backward_elementwise_kernelILi256ELi4EZNS1_32_unfold_backward_internal_kernelIlEEvRNS_14TensorIteratorEllllllEUliE_EEviT1_
                                        ; -- End function
	.set _ZN2at6native12_GLOBAL__N_135_unfold_backward_elementwise_kernelILi256ELi4EZNS1_32_unfold_backward_internal_kernelIlEEvRNS_14TensorIteratorEllllllEUliE_EEviT1_.num_vgpr, 20
	.set _ZN2at6native12_GLOBAL__N_135_unfold_backward_elementwise_kernelILi256ELi4EZNS1_32_unfold_backward_internal_kernelIlEEvRNS_14TensorIteratorEllllllEUliE_EEviT1_.num_agpr, 0
	.set _ZN2at6native12_GLOBAL__N_135_unfold_backward_elementwise_kernelILi256ELi4EZNS1_32_unfold_backward_internal_kernelIlEEvRNS_14TensorIteratorEllllllEUliE_EEviT1_.numbered_sgpr, 73
	.set _ZN2at6native12_GLOBAL__N_135_unfold_backward_elementwise_kernelILi256ELi4EZNS1_32_unfold_backward_internal_kernelIlEEvRNS_14TensorIteratorEllllllEUliE_EEviT1_.num_named_barrier, 0
	.set _ZN2at6native12_GLOBAL__N_135_unfold_backward_elementwise_kernelILi256ELi4EZNS1_32_unfold_backward_internal_kernelIlEEvRNS_14TensorIteratorEllllllEUliE_EEviT1_.private_seg_size, 0
	.set _ZN2at6native12_GLOBAL__N_135_unfold_backward_elementwise_kernelILi256ELi4EZNS1_32_unfold_backward_internal_kernelIlEEvRNS_14TensorIteratorEllllllEUliE_EEviT1_.uses_vcc, 1
	.set _ZN2at6native12_GLOBAL__N_135_unfold_backward_elementwise_kernelILi256ELi4EZNS1_32_unfold_backward_internal_kernelIlEEvRNS_14TensorIteratorEllllllEUliE_EEviT1_.uses_flat_scratch, 0
	.set _ZN2at6native12_GLOBAL__N_135_unfold_backward_elementwise_kernelILi256ELi4EZNS1_32_unfold_backward_internal_kernelIlEEvRNS_14TensorIteratorEllllllEUliE_EEviT1_.has_dyn_sized_stack, 0
	.set _ZN2at6native12_GLOBAL__N_135_unfold_backward_elementwise_kernelILi256ELi4EZNS1_32_unfold_backward_internal_kernelIlEEvRNS_14TensorIteratorEllllllEUliE_EEviT1_.has_recursion, 0
	.set _ZN2at6native12_GLOBAL__N_135_unfold_backward_elementwise_kernelILi256ELi4EZNS1_32_unfold_backward_internal_kernelIlEEvRNS_14TensorIteratorEllllllEUliE_EEviT1_.has_indirect_call, 0
	.section	.AMDGPU.csdata,"",@progbits
; Kernel info:
; codeLenInByte = 11044
; TotalNumSgprs: 79
; NumVgprs: 20
; NumAgprs: 0
; TotalNumVgprs: 20
; ScratchSize: 0
; MemoryBound: 0
; FloatMode: 240
; IeeeMode: 1
; LDSByteSize: 0 bytes/workgroup (compile time only)
; SGPRBlocks: 9
; VGPRBlocks: 2
; NumSGPRsForWavesPerEU: 79
; NumVGPRsForWavesPerEU: 20
; AccumOffset: 20
; Occupancy: 8
; WaveLimiterHint : 1
; COMPUTE_PGM_RSRC2:SCRATCH_EN: 0
; COMPUTE_PGM_RSRC2:USER_SGPR: 2
; COMPUTE_PGM_RSRC2:TRAP_HANDLER: 0
; COMPUTE_PGM_RSRC2:TGID_X_EN: 1
; COMPUTE_PGM_RSRC2:TGID_Y_EN: 0
; COMPUTE_PGM_RSRC2:TGID_Z_EN: 0
; COMPUTE_PGM_RSRC2:TIDIG_COMP_CNT: 0
; COMPUTE_PGM_RSRC3_GFX90A:ACCUM_OFFSET: 4
; COMPUTE_PGM_RSRC3_GFX90A:TG_SPLIT: 0
	.section	.text._ZN2at6native12_GLOBAL__N_135_unfold_backward_elementwise_kernelILi256ELi4EZNS1_32_unfold_backward_internal_kernelIsEEvRNS_14TensorIteratorEllllllEUliE_EEviT1_,"axG",@progbits,_ZN2at6native12_GLOBAL__N_135_unfold_backward_elementwise_kernelILi256ELi4EZNS1_32_unfold_backward_internal_kernelIsEEvRNS_14TensorIteratorEllllllEUliE_EEviT1_,comdat
	.globl	_ZN2at6native12_GLOBAL__N_135_unfold_backward_elementwise_kernelILi256ELi4EZNS1_32_unfold_backward_internal_kernelIsEEvRNS_14TensorIteratorEllllllEUliE_EEviT1_ ; -- Begin function _ZN2at6native12_GLOBAL__N_135_unfold_backward_elementwise_kernelILi256ELi4EZNS1_32_unfold_backward_internal_kernelIsEEvRNS_14TensorIteratorEllllllEUliE_EEviT1_
	.p2align	8
	.type	_ZN2at6native12_GLOBAL__N_135_unfold_backward_elementwise_kernelILi256ELi4EZNS1_32_unfold_backward_internal_kernelIsEEvRNS_14TensorIteratorEllllllEUliE_EEviT1_,@function
_ZN2at6native12_GLOBAL__N_135_unfold_backward_elementwise_kernelILi256ELi4EZNS1_32_unfold_backward_internal_kernelIsEEvRNS_14TensorIteratorEllllllEUliE_EEviT1_: ; @_ZN2at6native12_GLOBAL__N_135_unfold_backward_elementwise_kernelILi256ELi4EZNS1_32_unfold_backward_internal_kernelIsEEvRNS_14TensorIteratorEllllllEUliE_EEviT1_
; %bb.0:
	s_load_dword s70, s[0:1], 0x0
	s_load_dwordx8 s[20:27], s[0:1], 0x8
	v_lshl_or_b32 v14, s2, 10, v0
	s_waitcnt lgkmcnt(0)
	s_add_u32 s27, s0, 8
	s_load_dwordx16 s[4:19], s[0:1], 0x190
	s_load_dwordx4 s[28:31], s[0:1], 0xcc
	s_load_dwordx2 s[34:35], s[0:1], 0xdc
	s_addc_u32 s33, s1, 0
	v_sub_co_u32_e64 v0, s[2:3], s20, 1
	s_nop 0
	v_readfirstlane_b32 s68, v0
	s_xor_b64 s[64:65], s[2:3], -1
	s_or_b32 s62, s0, 12
	s_min_u32 s69, s68, 15
	s_mov_b32 s63, s1
	s_cmp_gt_u32 s20, 1
	v_cmp_lt_u32_e64 s[0:1], 1, v0
	s_cselect_b64 s[60:61], -1, 0
	s_waitcnt lgkmcnt(0)
	s_add_u32 s14, s14, -1
	v_cndmask_b32_e64 v0, 0, 1, s[0:1]
	s_mov_b64 s[2:3], -1
	s_addc_u32 s15, s15, -1
	v_cmp_gt_i32_e32 vcc, s70, v14
	v_cmp_ne_u32_e64 s[0:1], 1, v0
	s_and_saveexec_b64 s[66:67], vcc
	s_cbranch_execnz .LBB4_4
; %bb.1:
	s_or_b64 exec, exec, s[66:67]
	v_cmp_gt_i32_e32 vcc, s70, v14
	s_and_saveexec_b64 s[66:67], vcc
	s_cbranch_execnz .LBB4_31
.LBB4_2:
	s_or_b64 exec, exec, s[66:67]
	v_cmp_gt_i32_e32 vcc, s70, v14
	s_and_saveexec_b64 s[66:67], vcc
	s_cbranch_execnz .LBB4_58
.LBB4_3:
	s_or_b64 exec, exec, s[66:67]
	v_cmp_gt_i32_e32 vcc, s70, v14
	s_and_saveexec_b64 s[2:3], vcc
	s_cbranch_execnz .LBB4_85
	s_branch .LBB4_111
.LBB4_4:
	s_and_b64 vcc, exec, s[0:1]
                                        ; implicit-def: $vgpr4
                                        ; implicit-def: $vgpr0
                                        ; implicit-def: $vgpr2
	s_cbranch_vccnz .LBB4_14
; %bb.5:
	v_mov_b32_e32 v4, 0
	s_andn2_b64 vcc, exec, s[64:65]
	v_mov_b32_e32 v0, 0
	v_mov_b32_e32 v2, 0
	s_cbranch_vccnz .LBB4_13
; %bb.6:
	s_add_i32 s71, s69, 1
	s_cmp_eq_u32 s68, 2
	s_cbranch_scc1 .LBB4_10
; %bb.7:
	s_and_b32 s20, s71, 28
	v_mov_b32_e32 v2, 0
	s_mov_b32 s72, 0
	s_mov_b64 s[2:3], s[62:63]
	v_mov_b32_e32 v6, v14
	v_mov_b32_e32 v0, 0
	;; [unrolled: 1-line block ×3, first 2 shown]
.LBB4_8:                                ; =>This Inner Loop Header: Depth=1
	s_load_dwordx8 s[36:43], s[2:3], 0x0
	s_load_dwordx4 s[52:55], s[2:3], 0x20
	s_load_dwordx4 s[56:59], s[2:3], 0xe0
	s_load_dwordx8 s[44:51], s[2:3], 0xc0
	s_add_i32 s72, s72, 4
	s_waitcnt lgkmcnt(0)
	v_mul_hi_u32 v1, s37, v6
	v_add_u32_e32 v1, v6, v1
	v_lshrrev_b32_e32 v1, s38, v1
	v_mul_hi_u32 v5, s40, v1
	v_add_u32_e32 v5, v1, v5
	v_lshrrev_b32_e32 v5, s41, v5
	v_mul_lo_u32 v3, v1, s36
	v_mul_lo_u32 v8, v5, s39
	v_mul_hi_u32 v9, s43, v5
	v_sub_u32_e32 v3, v6, v3
	v_sub_u32_e32 v1, v1, v8
	v_add_u32_e32 v8, v5, v9
	v_mul_lo_u32 v6, v3, s44
	v_mul_lo_u32 v7, v3, s46
	;; [unrolled: 1-line block ×6, first 2 shown]
	v_lshrrev_b32_e32 v8, s52, v8
	v_add3_u32 v0, v3, v0, v1
	v_add3_u32 v1, v7, v4, v10
	v_mul_hi_u32 v4, s54, v8
	v_add_u32_e32 v4, v8, v4
	v_add3_u32 v2, v6, v2, v9
	v_lshrrev_b32_e32 v6, s55, v4
	v_mul_lo_u32 v3, v8, s42
	v_mul_lo_u32 v4, v6, s53
	s_add_u32 s2, s2, 48
	v_sub_u32_e32 v3, v5, v3
	v_sub_u32_e32 v4, v8, v4
	s_addc_u32 s3, s3, 0
	v_mul_lo_u32 v5, v3, s50
	v_mul_lo_u32 v7, v3, s51
	;; [unrolled: 1-line block ×6, first 2 shown]
	s_cmp_lg_u32 s20, s72
	v_add3_u32 v2, v5, v2, v8
	v_add3_u32 v4, v3, v1, v4
	;; [unrolled: 1-line block ×3, first 2 shown]
	s_cbranch_scc1 .LBB4_8
; %bb.9:
	v_mov_b32_e32 v1, v4
	s_and_b32 s36, s71, 3
	s_cmp_eq_u32 s36, 0
	s_cbranch_scc0 .LBB4_11
	s_branch .LBB4_13
.LBB4_10:
	v_mov_b32_e32 v0, 0
	s_mov_b32 s20, 0
	v_mov_b32_e32 v1, v0
                                        ; implicit-def: $vgpr4
	v_mov_b32_e32 v6, v14
	v_mov_b32_e32 v2, v0
	s_and_b32 s36, s71, 3
	s_cmp_eq_u32 s36, 0
	s_cbranch_scc1 .LBB4_13
.LBB4_11:
	s_mul_i32 s2, s20, 12
	s_add_u32 s2, s27, s2
	s_addc_u32 s3, s33, 0
	s_add_u32 s2, s2, 4
	s_addc_u32 s3, s3, 0
.LBB4_12:                               ; =>This Inner Loop Header: Depth=1
	s_load_dwordx2 s[38:39], s[2:3], 0x0
	s_load_dword s20, s[2:3], 0x8
	s_load_dwordx2 s[40:41], s[2:3], 0xc0
	s_load_dword s37, s[2:3], 0xc8
	v_mov_b32_e32 v4, v1
	s_waitcnt lgkmcnt(0)
	v_mul_hi_u32 v1, s39, v6
	v_add_u32_e32 v1, v6, v1
	v_lshrrev_b32_e32 v1, s20, v1
	v_mul_lo_u32 v3, v1, s38
	s_add_u32 s2, s2, 12
	v_sub_u32_e32 v7, v6, v3
	s_addc_u32 s3, s3, 0
	s_add_i32 s36, s36, -1
	v_mov_b32_e32 v6, v1
	v_mad_u64_u32 v[4:5], s[38:39], v7, s37, v[4:5]
	v_mad_u64_u32 v[0:1], s[38:39], v7, s41, v[0:1]
	s_cmp_lg_u32 s36, 0
	v_mad_u64_u32 v[2:3], s[38:39], v7, s40, v[2:3]
	v_mov_b32_e32 v1, v4
	s_cbranch_scc1 .LBB4_12
.LBB4_13:
	s_mov_b64 s[2:3], 0
.LBB4_14:
	s_andn2_b64 vcc, exec, s[2:3]
	s_cbranch_vccnz .LBB4_17
; %bb.15:
	v_mul_hi_u32 v0, s22, v14
	v_add_u32_e32 v0, v14, v0
	v_lshrrev_b32_e32 v1, s23, v0
	v_mul_lo_u32 v0, v1, s21
	v_sub_u32_e32 v0, v14, v0
	v_mul_lo_u32 v2, v0, s28
	v_mul_lo_u32 v4, v0, s30
	s_andn2_b64 vcc, exec, s[60:61]
	v_mul_lo_u32 v0, v0, s29
	s_cbranch_vccnz .LBB4_17
; %bb.16:
	v_mul_hi_u32 v3, s25, v1
	v_add_u32_e32 v3, v1, v3
	v_lshrrev_b32_e32 v3, s26, v3
	v_mul_lo_u32 v3, v3, s24
	v_sub_u32_e32 v5, v1, v3
	v_mad_u64_u32 v[2:3], s[2:3], v5, s31, v[2:3]
	v_mad_u64_u32 v[0:1], s[2:3], v5, s34, v[0:1]
	;; [unrolled: 1-line block ×3, first 2 shown]
.LBB4_17:
	global_load_dwordx2 v[4:5], v4, s[8:9]
	v_mov_b64_e32 v[6:7], 0
	s_waitcnt vmcnt(0)
	v_cmp_lt_i64_e32 vcc, s[10:11], v[4:5]
	s_and_saveexec_b64 s[36:37], vcc
	s_cbranch_execz .LBB4_23
; %bb.18:
	v_mov_b32_e32 v1, s11
	v_subrev_co_u32_e32 v8, vcc, s10, v4
	v_mov_b32_e32 v10, 0
	s_nop 0
	v_subb_co_u32_e32 v9, vcc, v5, v1, vcc
	v_or_b32_e32 v11, s13, v9
	v_cmp_ne_u64_e32 vcc, 0, v[10:11]
                                        ; implicit-def: $vgpr6_vgpr7
	s_and_saveexec_b64 s[2:3], vcc
	s_xor_b64 s[38:39], exec, s[2:3]
	s_cbranch_execz .LBB4_20
; %bb.19:
	s_ashr_i32 s40, s13, 31
	s_add_u32 s2, s12, s40
	s_mov_b32 s41, s40
	s_addc_u32 s3, s13, s40
	s_xor_b64 s[42:43], s[2:3], s[40:41]
	v_cvt_f32_u32_e32 v1, s42
	v_cvt_f32_u32_e32 v3, s43
	s_sub_u32 s20, 0, s42
	s_subb_u32 s41, 0, s43
	v_ashrrev_i32_e32 v6, 31, v9
	v_fmamk_f32 v1, v3, 0x4f800000, v1
	v_rcp_f32_e32 v1, v1
	v_mov_b32_e32 v7, v6
	v_lshl_add_u64 v[8:9], v[8:9], 0, v[6:7]
	v_mov_b32_e32 v13, v10
	v_mul_f32_e32 v1, 0x5f7ffffc, v1
	v_mul_f32_e32 v3, 0x2f800000, v1
	v_trunc_f32_e32 v3, v3
	v_fmamk_f32 v1, v3, 0xcf800000, v1
	v_cvt_u32_f32_e32 v3, v3
	v_cvt_u32_f32_e32 v1, v1
	v_readfirstlane_b32 s44, v3
	v_readfirstlane_b32 s2, v1
	s_mul_i32 s3, s20, s44
	s_mul_hi_u32 s46, s20, s2
	s_mul_i32 s45, s41, s2
	s_add_i32 s3, s46, s3
	s_add_i32 s3, s3, s45
	s_mul_i32 s47, s20, s2
	s_mul_i32 s46, s2, s3
	s_mul_hi_u32 s48, s2, s47
	s_mul_hi_u32 s45, s2, s3
	s_add_u32 s46, s48, s46
	s_addc_u32 s45, 0, s45
	s_mul_hi_u32 s49, s44, s47
	s_mul_i32 s47, s44, s47
	s_add_u32 s46, s46, s47
	s_mul_hi_u32 s48, s44, s3
	s_addc_u32 s45, s45, s49
	s_addc_u32 s46, s48, 0
	s_mul_i32 s3, s44, s3
	s_add_u32 s3, s45, s3
	s_addc_u32 s45, 0, s46
	s_add_u32 s46, s2, s3
	s_cselect_b64 s[2:3], -1, 0
	s_cmp_lg_u64 s[2:3], 0
	s_addc_u32 s44, s44, s45
	s_mul_i32 s2, s20, s44
	s_mul_hi_u32 s3, s20, s46
	s_add_i32 s2, s3, s2
	s_mul_i32 s41, s41, s46
	s_add_i32 s2, s2, s41
	s_mul_i32 s20, s20, s46
	s_mul_hi_u32 s41, s44, s20
	s_mul_i32 s45, s44, s20
	s_mul_i32 s48, s46, s2
	s_mul_hi_u32 s20, s46, s20
	s_mul_hi_u32 s47, s46, s2
	s_add_u32 s20, s20, s48
	s_addc_u32 s47, 0, s47
	s_add_u32 s20, s20, s45
	s_mul_hi_u32 s3, s44, s2
	s_addc_u32 s20, s47, s41
	s_addc_u32 s3, s3, 0
	s_mul_i32 s2, s44, s2
	s_add_u32 s2, s20, s2
	s_addc_u32 s20, 0, s3
	s_add_u32 s41, s46, s2
	s_cselect_b64 s[2:3], -1, 0
	s_cmp_lg_u64 s[2:3], 0
	s_addc_u32 s20, s44, s20
	v_xor_b32_e32 v3, v8, v6
	v_xor_b32_e32 v1, v9, v6
	v_mad_u64_u32 v[8:9], s[2:3], v3, s20, 0
	v_mul_hi_u32 v12, v3, s41
	v_lshl_add_u64 v[8:9], v[12:13], 0, v[8:9]
	v_mad_u64_u32 v[16:17], s[2:3], v1, s41, 0
	v_add_co_u32_e32 v7, vcc, v8, v16
	v_mad_u64_u32 v[12:13], s[2:3], v1, s20, 0
	s_nop 0
	v_addc_co_u32_e32 v8, vcc, v9, v17, vcc
	v_mov_b32_e32 v9, v10
	s_nop 0
	v_addc_co_u32_e32 v13, vcc, 0, v13, vcc
	v_lshl_add_u64 v[8:9], v[8:9], 0, v[12:13]
	v_mul_lo_u32 v7, s43, v8
	v_mul_lo_u32 v12, s42, v9
	v_mad_u64_u32 v[10:11], s[2:3], s42, v8, 0
	v_add3_u32 v7, v11, v12, v7
	v_sub_u32_e32 v11, v1, v7
	v_mov_b32_e32 v12, s43
	v_sub_co_u32_e32 v3, vcc, v3, v10
	s_nop 1
	v_subb_co_u32_e64 v10, s[2:3], v11, v12, vcc
	v_subrev_co_u32_e64 v11, s[2:3], s42, v3
	v_subb_co_u32_e32 v1, vcc, v1, v7, vcc
	s_nop 0
	v_subbrev_co_u32_e64 v10, s[2:3], 0, v10, s[2:3]
	v_cmp_le_u32_e64 s[2:3], s43, v10
	v_cmp_le_u32_e32 vcc, s43, v1
	s_nop 0
	v_cndmask_b32_e64 v12, 0, -1, s[2:3]
	v_cmp_le_u32_e64 s[2:3], s42, v11
	v_cndmask_b32_e64 v7, 0, -1, vcc
	v_cmp_le_u32_e32 vcc, s42, v3
	v_cndmask_b32_e64 v11, 0, -1, s[2:3]
	v_cmp_eq_u32_e64 s[2:3], s43, v10
	v_cndmask_b32_e64 v3, 0, -1, vcc
	v_cmp_eq_u32_e32 vcc, s43, v1
	v_cndmask_b32_e64 v15, v12, v11, s[2:3]
	v_lshl_add_u64 v[10:11], v[8:9], 0, 2
	v_lshl_add_u64 v[12:13], v[8:9], 0, 1
	v_cmp_ne_u32_e64 s[2:3], 0, v15
	v_cndmask_b32_e32 v1, v7, v3, vcc
	v_cmp_ne_u32_e32 vcc, 0, v1
	v_cndmask_b32_e64 v3, v12, v10, s[2:3]
	v_cndmask_b32_e64 v11, v13, v11, s[2:3]
	v_cndmask_b32_e32 v3, v8, v3, vcc
	v_xor_b32_e32 v7, s40, v6
	v_cndmask_b32_e32 v1, v9, v11, vcc
	v_xor_b32_e32 v3, v3, v7
	v_xor_b32_e32 v1, v1, v7
	v_sub_co_u32_e32 v6, vcc, v3, v7
                                        ; implicit-def: $vgpr8
	s_nop 1
	v_subb_co_u32_e32 v7, vcc, v1, v7, vcc
.LBB4_20:
	s_andn2_saveexec_b64 s[2:3], s[38:39]
	s_cbranch_execz .LBB4_22
; %bb.21:
	v_cvt_f32_u32_e32 v1, s12
	s_sub_i32 s20, 0, s12
	v_rcp_iflag_f32_e32 v1, v1
	s_nop 0
	v_mul_f32_e32 v1, 0x4f7ffffe, v1
	v_cvt_u32_f32_e32 v1, v1
	v_mul_lo_u32 v3, s20, v1
	v_mul_hi_u32 v3, v1, v3
	v_add_u32_e32 v1, v1, v3
	v_mul_hi_u32 v1, v8, v1
	v_mul_lo_u32 v3, v1, s12
	v_sub_u32_e32 v3, v8, v3
	v_add_u32_e32 v6, 1, v1
	v_subrev_u32_e32 v7, s12, v3
	v_cmp_le_u32_e32 vcc, s12, v3
	s_nop 1
	v_cndmask_b32_e32 v3, v3, v7, vcc
	v_cndmask_b32_e32 v1, v1, v6, vcc
	v_add_u32_e32 v6, 1, v1
	v_cmp_le_u32_e32 vcc, s12, v3
	v_mov_b32_e32 v7, 0
	s_nop 0
	v_cndmask_b32_e32 v6, v1, v6, vcc
.LBB4_22:
	s_or_b64 exec, exec, s[2:3]
.LBB4_23:
	s_or_b64 exec, exec, s[36:37]
	v_or_b32_e32 v9, s13, v5
	v_mov_b32_e32 v8, 0
	v_cmp_ne_u64_e32 vcc, 0, v[8:9]
                                        ; implicit-def: $vgpr10_vgpr11
	s_and_saveexec_b64 s[2:3], vcc
	s_xor_b64 s[36:37], exec, s[2:3]
	s_cbranch_execz .LBB4_25
; %bb.24:
	s_ashr_i32 s38, s13, 31
	s_add_u32 s2, s12, s38
	s_mov_b32 s39, s38
	s_addc_u32 s3, s13, s38
	s_xor_b64 s[40:41], s[2:3], s[38:39]
	v_cvt_f32_u32_e32 v1, s40
	v_cvt_f32_u32_e32 v3, s41
	s_sub_u32 s20, 0, s40
	s_subb_u32 s39, 0, s41
	v_ashrrev_i32_e32 v10, 31, v5
	v_fmamk_f32 v1, v3, 0x4f800000, v1
	v_rcp_f32_e32 v1, v1
	v_mov_b32_e32 v11, v10
	v_lshl_add_u64 v[12:13], v[4:5], 0, v[10:11]
	v_mov_b32_e32 v17, v8
	v_mul_f32_e32 v1, 0x5f7ffffc, v1
	v_mul_f32_e32 v3, 0x2f800000, v1
	v_trunc_f32_e32 v3, v3
	v_fmamk_f32 v1, v3, 0xcf800000, v1
	v_cvt_u32_f32_e32 v3, v3
	v_cvt_u32_f32_e32 v1, v1
	v_readfirstlane_b32 s42, v3
	v_readfirstlane_b32 s2, v1
	s_mul_i32 s3, s20, s42
	s_mul_hi_u32 s44, s20, s2
	s_mul_i32 s43, s39, s2
	s_add_i32 s3, s44, s3
	s_add_i32 s3, s3, s43
	s_mul_i32 s45, s20, s2
	s_mul_i32 s44, s2, s3
	s_mul_hi_u32 s46, s2, s45
	s_mul_hi_u32 s43, s2, s3
	s_add_u32 s44, s46, s44
	s_addc_u32 s43, 0, s43
	s_mul_hi_u32 s47, s42, s45
	s_mul_i32 s45, s42, s45
	s_add_u32 s44, s44, s45
	s_mul_hi_u32 s46, s42, s3
	s_addc_u32 s43, s43, s47
	s_addc_u32 s44, s46, 0
	s_mul_i32 s3, s42, s3
	s_add_u32 s3, s43, s3
	s_addc_u32 s43, 0, s44
	s_add_u32 s44, s2, s3
	s_cselect_b64 s[2:3], -1, 0
	s_cmp_lg_u64 s[2:3], 0
	s_addc_u32 s42, s42, s43
	s_mul_i32 s2, s20, s42
	s_mul_hi_u32 s3, s20, s44
	s_add_i32 s2, s3, s2
	s_mul_i32 s39, s39, s44
	s_add_i32 s2, s2, s39
	s_mul_i32 s20, s20, s44
	s_mul_hi_u32 s39, s42, s20
	s_mul_i32 s43, s42, s20
	s_mul_i32 s46, s44, s2
	s_mul_hi_u32 s20, s44, s20
	s_mul_hi_u32 s45, s44, s2
	s_add_u32 s20, s20, s46
	s_addc_u32 s45, 0, s45
	s_add_u32 s20, s20, s43
	s_mul_hi_u32 s3, s42, s2
	s_addc_u32 s20, s45, s39
	s_addc_u32 s3, s3, 0
	s_mul_i32 s2, s42, s2
	s_add_u32 s2, s20, s2
	s_addc_u32 s20, 0, s3
	s_add_u32 s39, s44, s2
	s_cselect_b64 s[2:3], -1, 0
	s_cmp_lg_u64 s[2:3], 0
	s_addc_u32 s20, s42, s20
	v_xor_b32_e32 v3, v12, v10
	v_xor_b32_e32 v1, v13, v10
	v_mad_u64_u32 v[12:13], s[2:3], v3, s20, 0
	v_mul_hi_u32 v16, v3, s39
	v_lshl_add_u64 v[12:13], v[16:17], 0, v[12:13]
	v_mad_u64_u32 v[18:19], s[2:3], v1, s39, 0
	v_add_co_u32_e32 v9, vcc, v12, v18
	v_mad_u64_u32 v[16:17], s[2:3], v1, s20, 0
	s_nop 0
	v_addc_co_u32_e32 v12, vcc, v13, v19, vcc
	v_mov_b32_e32 v13, v8
	s_nop 0
	v_addc_co_u32_e32 v17, vcc, 0, v17, vcc
	v_lshl_add_u64 v[8:9], v[12:13], 0, v[16:17]
	v_mul_lo_u32 v11, s41, v8
	v_mul_lo_u32 v15, s40, v9
	v_mad_u64_u32 v[12:13], s[2:3], s40, v8, 0
	v_add3_u32 v11, v13, v15, v11
	v_sub_u32_e32 v13, v1, v11
	v_mov_b32_e32 v15, s41
	v_sub_co_u32_e32 v3, vcc, v3, v12
	v_lshl_add_u64 v[16:17], v[8:9], 0, 1
	s_nop 0
	v_subb_co_u32_e64 v12, s[2:3], v13, v15, vcc
	v_subrev_co_u32_e64 v13, s[2:3], s40, v3
	v_subb_co_u32_e32 v1, vcc, v1, v11, vcc
	s_nop 0
	v_subbrev_co_u32_e64 v12, s[2:3], 0, v12, s[2:3]
	v_cmp_le_u32_e64 s[2:3], s41, v12
	v_cmp_le_u32_e32 vcc, s41, v1
	s_nop 0
	v_cndmask_b32_e64 v15, 0, -1, s[2:3]
	v_cmp_le_u32_e64 s[2:3], s40, v13
	v_cndmask_b32_e64 v11, 0, -1, vcc
	v_cmp_le_u32_e32 vcc, s40, v3
	v_cndmask_b32_e64 v13, 0, -1, s[2:3]
	v_cmp_eq_u32_e64 s[2:3], s41, v12
	v_cndmask_b32_e64 v3, 0, -1, vcc
	v_cmp_eq_u32_e32 vcc, s41, v1
	v_cndmask_b32_e64 v15, v15, v13, s[2:3]
	v_lshl_add_u64 v[12:13], v[8:9], 0, 2
	v_cmp_ne_u32_e64 s[2:3], 0, v15
	v_cndmask_b32_e32 v1, v11, v3, vcc
	v_cmp_ne_u32_e32 vcc, 0, v1
	v_cndmask_b32_e64 v3, v16, v12, s[2:3]
	v_cndmask_b32_e64 v13, v17, v13, s[2:3]
	v_cndmask_b32_e32 v3, v8, v3, vcc
	v_xor_b32_e32 v8, s38, v10
	v_cndmask_b32_e32 v1, v9, v13, vcc
	v_xor_b32_e32 v3, v3, v8
	v_xor_b32_e32 v1, v1, v8
	v_sub_co_u32_e32 v10, vcc, v3, v8
	s_nop 1
	v_subb_co_u32_e32 v11, vcc, v1, v8, vcc
.LBB4_25:
	s_andn2_saveexec_b64 s[2:3], s[36:37]
	s_cbranch_execz .LBB4_27
; %bb.26:
	v_cvt_f32_u32_e32 v1, s12
	s_sub_i32 s20, 0, s12
	v_mov_b32_e32 v11, 0
	v_rcp_iflag_f32_e32 v1, v1
	s_nop 0
	v_mul_f32_e32 v1, 0x4f7ffffe, v1
	v_cvt_u32_f32_e32 v1, v1
	v_mul_lo_u32 v3, s20, v1
	v_mul_hi_u32 v3, v1, v3
	v_add_u32_e32 v1, v1, v3
	v_mul_hi_u32 v1, v4, v1
	v_mul_lo_u32 v3, v1, s12
	v_sub_u32_e32 v3, v4, v3
	v_add_u32_e32 v8, 1, v1
	v_subrev_u32_e32 v9, s12, v3
	v_cmp_le_u32_e32 vcc, s12, v3
	s_nop 1
	v_cndmask_b32_e32 v3, v3, v9, vcc
	v_cndmask_b32_e32 v1, v1, v8, vcc
	v_add_u32_e32 v8, 1, v1
	v_cmp_le_u32_e32 vcc, s12, v3
	s_nop 1
	v_cndmask_b32_e32 v10, v1, v8, vcc
.LBB4_27:
	s_or_b64 exec, exec, s[2:3]
	v_mul_lo_u32 v1, v7, s12
	v_mul_lo_u32 v3, v6, s13
	v_mad_u64_u32 v[8:9], s[2:3], v6, s12, 0
	v_add3_u32 v9, v9, v3, v1
	v_cmp_gt_i64_e32 vcc, v[8:9], v[4:5]
	v_mov_b64_e32 v[8:9], s[10:11]
	v_mad_u64_u32 v[8:9], s[2:3], v6, s12, v[8:9]
	v_add3_u32 v9, v1, v9, v3
	v_cmp_ge_i64_e64 s[2:3], v[4:5], v[8:9]
	s_or_b64 s[2:3], vcc, s[2:3]
	v_mov_b32_e32 v1, s15
	v_cndmask_b32_e64 v8, 0, 1, s[2:3]
	s_mov_b32 s2, 0
	v_mov_b32_e32 v9, s2
	v_cmp_gt_i64_e32 vcc, s[14:15], v[10:11]
	v_lshl_add_u64 v[12:13], v[6:7], 0, v[8:9]
	s_nop 0
	v_cndmask_b32_e32 v7, v1, v11, vcc
	v_mov_b32_e32 v1, s14
	v_cndmask_b32_e32 v6, v1, v10, vcc
	v_cmp_le_i64_e32 vcc, v[12:13], v[6:7]
	s_and_saveexec_b64 s[2:3], vcc
	s_cbranch_execz .LBB4_30
; %bb.28:
	global_load_ushort v10, v2, s[4:5]
	v_mul_lo_u32 v11, s13, v12
	v_mul_lo_u32 v15, s12, v13
	v_mad_u64_u32 v[16:17], s[36:37], s12, v12, 0
	v_add3_u32 v11, v17, v15, v11
	v_sub_co_u32_e32 v4, vcc, v4, v16
	v_mov_b32_e32 v3, 0
	s_nop 0
	v_subb_co_u32_e32 v5, vcc, v5, v11, vcc
	v_mul_lo_u32 v11, s19, v4
	v_mul_lo_u32 v15, s18, v5
	v_mad_u64_u32 v[4:5], s[36:37], s18, v4, 0
	v_lshl_add_u64 v[8:9], s[4:5], 0, v[2:3]
	v_mov_b32_e32 v1, v3
	v_lshl_add_u64 v[2:3], v[12:13], 0, -1
	v_add3_u32 v5, v5, v15, v11
	v_mul_lo_u32 v11, s17, v12
	v_mul_lo_u32 v15, s16, v13
	v_mad_u64_u32 v[12:13], s[36:37], s16, v12, 0
	s_mul_i32 s20, s12, s19
	s_mul_hi_u32 s38, s12, s18
	v_add3_u32 v13, v13, v15, v11
	s_add_i32 s20, s38, s20
	s_mul_i32 s38, s13, s18
	v_lshlrev_b64 v[12:13], 1, v[12:13]
	s_add_i32 s39, s20, s38
	s_mul_i32 s38, s12, s18
	v_lshl_add_u64 v[4:5], v[4:5], 1, v[12:13]
	s_lshl_b64 s[36:37], s[16:17], 1
	s_lshl_b64 s[38:39], s[38:39], 1
	v_lshl_add_u64 v[0:1], v[4:5], 0, v[0:1]
	s_sub_u32 s36, s36, s38
	v_lshl_add_u64 v[0:1], s[6:7], 0, v[0:1]
	s_subb_u32 s37, s37, s39
	s_mov_b64 s[38:39], 0
.LBB4_29:                               ; =>This Inner Loop Header: Depth=1
	global_load_ushort v4, v[0:1], off
	v_lshl_add_u64 v[2:3], v[2:3], 0, 1
	v_cmp_ge_i64_e32 vcc, v[2:3], v[6:7]
	v_lshl_add_u64 v[0:1], v[0:1], 0, s[36:37]
	s_or_b64 s[38:39], vcc, s[38:39]
	s_waitcnt vmcnt(0)
	v_add_u16_e32 v10, v4, v10
	global_store_short v[8:9], v10, off
	s_andn2_b64 exec, exec, s[38:39]
	s_cbranch_execnz .LBB4_29
.LBB4_30:
	s_or_b64 exec, exec, s[2:3]
	v_add_u32_e32 v14, 0x100, v14
	s_or_b64 exec, exec, s[66:67]
	v_cmp_gt_i32_e32 vcc, s70, v14
	s_and_saveexec_b64 s[66:67], vcc
	s_cbranch_execz .LBB4_2
.LBB4_31:
	s_and_b64 vcc, exec, s[0:1]
	s_cbranch_vccnz .LBB4_37
; %bb.32:
	v_mov_b32_e32 v4, 0
	s_andn2_b64 vcc, exec, s[64:65]
	v_mov_b32_e32 v0, 0
	v_mov_b32_e32 v2, 0
	s_cbranch_vccnz .LBB4_41
; %bb.33:
	s_add_i32 s71, s69, 1
	s_cmp_eq_u32 s68, 2
	s_cbranch_scc1 .LBB4_38
; %bb.34:
	s_and_b32 s20, s71, 28
	v_mov_b32_e32 v2, 0
	s_mov_b32 s72, 0
	s_mov_b64 s[2:3], s[62:63]
	v_mov_b32_e32 v6, v14
	v_mov_b32_e32 v0, 0
	;; [unrolled: 1-line block ×3, first 2 shown]
.LBB4_35:                               ; =>This Inner Loop Header: Depth=1
	s_load_dwordx8 s[36:43], s[2:3], 0x0
	s_load_dwordx4 s[52:55], s[2:3], 0x20
	s_load_dwordx4 s[56:59], s[2:3], 0xe0
	s_load_dwordx8 s[44:51], s[2:3], 0xc0
	s_add_i32 s72, s72, 4
	s_waitcnt lgkmcnt(0)
	v_mul_hi_u32 v1, s37, v6
	v_add_u32_e32 v1, v6, v1
	v_lshrrev_b32_e32 v1, s38, v1
	v_mul_hi_u32 v5, s40, v1
	v_add_u32_e32 v5, v1, v5
	v_lshrrev_b32_e32 v5, s41, v5
	v_mul_lo_u32 v3, v1, s36
	v_mul_lo_u32 v8, v5, s39
	v_mul_hi_u32 v9, s43, v5
	v_sub_u32_e32 v3, v6, v3
	v_sub_u32_e32 v1, v1, v8
	v_add_u32_e32 v8, v5, v9
	v_mul_lo_u32 v6, v3, s44
	v_mul_lo_u32 v7, v3, s46
	v_mul_lo_u32 v3, v3, s45
	v_mul_lo_u32 v9, v1, s47
	v_mul_lo_u32 v10, v1, s49
	v_mul_lo_u32 v1, v1, s48
	v_lshrrev_b32_e32 v8, s52, v8
	v_add3_u32 v0, v3, v0, v1
	v_add3_u32 v1, v7, v4, v10
	v_mul_hi_u32 v4, s54, v8
	v_add_u32_e32 v4, v8, v4
	v_add3_u32 v2, v6, v2, v9
	v_lshrrev_b32_e32 v6, s55, v4
	v_mul_lo_u32 v3, v8, s42
	v_mul_lo_u32 v4, v6, s53
	s_add_u32 s2, s2, 48
	v_sub_u32_e32 v3, v5, v3
	v_sub_u32_e32 v4, v8, v4
	s_addc_u32 s3, s3, 0
	v_mul_lo_u32 v5, v3, s50
	v_mul_lo_u32 v7, v3, s51
	;; [unrolled: 1-line block ×6, first 2 shown]
	s_cmp_eq_u32 s20, s72
	v_add3_u32 v2, v5, v2, v8
	v_add3_u32 v4, v3, v1, v4
	;; [unrolled: 1-line block ×3, first 2 shown]
	s_cbranch_scc0 .LBB4_35
; %bb.36:
	v_mov_b32_e32 v1, v4
	s_and_b32 s36, s71, 3
	s_cmp_eq_u32 s36, 0
	s_cbranch_scc0 .LBB4_39
	s_branch .LBB4_41
.LBB4_37:
                                        ; implicit-def: $vgpr4
                                        ; implicit-def: $vgpr0
                                        ; implicit-def: $vgpr2
	s_branch .LBB4_42
.LBB4_38:
	v_mov_b32_e32 v0, 0
	s_mov_b32 s20, 0
	v_mov_b32_e32 v1, v0
                                        ; implicit-def: $vgpr4
	v_mov_b32_e32 v6, v14
	v_mov_b32_e32 v2, v0
	s_and_b32 s36, s71, 3
	s_cmp_eq_u32 s36, 0
	s_cbranch_scc1 .LBB4_41
.LBB4_39:
	s_mul_i32 s2, s20, 12
	s_add_u32 s2, s27, s2
	s_addc_u32 s3, s33, 0
	s_add_u32 s2, s2, 4
	s_addc_u32 s3, s3, 0
.LBB4_40:                               ; =>This Inner Loop Header: Depth=1
	s_load_dwordx2 s[38:39], s[2:3], 0x0
	s_load_dword s20, s[2:3], 0x8
	s_load_dwordx2 s[40:41], s[2:3], 0xc0
	s_load_dword s37, s[2:3], 0xc8
	v_mov_b32_e32 v4, v1
	s_waitcnt lgkmcnt(0)
	v_mul_hi_u32 v1, s39, v6
	v_add_u32_e32 v1, v6, v1
	v_lshrrev_b32_e32 v1, s20, v1
	v_mul_lo_u32 v3, v1, s38
	s_add_u32 s2, s2, 12
	v_sub_u32_e32 v7, v6, v3
	s_addc_u32 s3, s3, 0
	s_add_i32 s36, s36, -1
	v_mov_b32_e32 v6, v1
	v_mad_u64_u32 v[4:5], s[38:39], v7, s37, v[4:5]
	v_mad_u64_u32 v[0:1], s[38:39], v7, s41, v[0:1]
	s_cmp_lg_u32 s36, 0
	v_mad_u64_u32 v[2:3], s[38:39], v7, s40, v[2:3]
	v_mov_b32_e32 v1, v4
	s_cbranch_scc1 .LBB4_40
.LBB4_41:
	s_cbranch_execnz .LBB4_44
.LBB4_42:
	v_mul_hi_u32 v0, s22, v14
	v_add_u32_e32 v0, v14, v0
	v_lshrrev_b32_e32 v1, s23, v0
	v_mul_lo_u32 v0, v1, s21
	v_sub_u32_e32 v0, v14, v0
	v_mul_lo_u32 v2, v0, s28
	v_mul_lo_u32 v4, v0, s30
	s_andn2_b64 vcc, exec, s[60:61]
	v_mul_lo_u32 v0, v0, s29
	s_cbranch_vccnz .LBB4_44
; %bb.43:
	v_mul_hi_u32 v3, s25, v1
	v_add_u32_e32 v3, v1, v3
	v_lshrrev_b32_e32 v3, s26, v3
	v_mul_lo_u32 v3, v3, s24
	v_sub_u32_e32 v5, v1, v3
	v_mad_u64_u32 v[2:3], s[2:3], v5, s31, v[2:3]
	v_mad_u64_u32 v[0:1], s[2:3], v5, s34, v[0:1]
	;; [unrolled: 1-line block ×3, first 2 shown]
.LBB4_44:
	global_load_dwordx2 v[4:5], v4, s[8:9]
	v_mov_b64_e32 v[6:7], 0
	s_waitcnt vmcnt(0)
	v_cmp_lt_i64_e32 vcc, s[10:11], v[4:5]
	s_and_saveexec_b64 s[36:37], vcc
	s_cbranch_execz .LBB4_50
; %bb.45:
	v_mov_b32_e32 v1, s11
	v_subrev_co_u32_e32 v8, vcc, s10, v4
	v_mov_b32_e32 v10, 0
	s_nop 0
	v_subb_co_u32_e32 v9, vcc, v5, v1, vcc
	v_or_b32_e32 v11, s13, v9
	v_cmp_ne_u64_e32 vcc, 0, v[10:11]
                                        ; implicit-def: $vgpr6_vgpr7
	s_and_saveexec_b64 s[2:3], vcc
	s_xor_b64 s[38:39], exec, s[2:3]
	s_cbranch_execz .LBB4_47
; %bb.46:
	s_ashr_i32 s40, s13, 31
	s_add_u32 s2, s12, s40
	s_mov_b32 s41, s40
	s_addc_u32 s3, s13, s40
	s_xor_b64 s[42:43], s[2:3], s[40:41]
	v_cvt_f32_u32_e32 v1, s42
	v_cvt_f32_u32_e32 v3, s43
	s_sub_u32 s20, 0, s42
	s_subb_u32 s41, 0, s43
	v_ashrrev_i32_e32 v6, 31, v9
	v_fmamk_f32 v1, v3, 0x4f800000, v1
	v_rcp_f32_e32 v1, v1
	v_mov_b32_e32 v7, v6
	v_lshl_add_u64 v[8:9], v[8:9], 0, v[6:7]
	v_mov_b32_e32 v13, v10
	v_mul_f32_e32 v1, 0x5f7ffffc, v1
	v_mul_f32_e32 v3, 0x2f800000, v1
	v_trunc_f32_e32 v3, v3
	v_fmamk_f32 v1, v3, 0xcf800000, v1
	v_cvt_u32_f32_e32 v3, v3
	v_cvt_u32_f32_e32 v1, v1
	v_readfirstlane_b32 s44, v3
	v_readfirstlane_b32 s2, v1
	s_mul_i32 s3, s20, s44
	s_mul_hi_u32 s46, s20, s2
	s_mul_i32 s45, s41, s2
	s_add_i32 s3, s46, s3
	s_add_i32 s3, s3, s45
	s_mul_i32 s47, s20, s2
	s_mul_i32 s46, s2, s3
	s_mul_hi_u32 s48, s2, s47
	s_mul_hi_u32 s45, s2, s3
	s_add_u32 s46, s48, s46
	s_addc_u32 s45, 0, s45
	s_mul_hi_u32 s49, s44, s47
	s_mul_i32 s47, s44, s47
	s_add_u32 s46, s46, s47
	s_mul_hi_u32 s48, s44, s3
	s_addc_u32 s45, s45, s49
	s_addc_u32 s46, s48, 0
	s_mul_i32 s3, s44, s3
	s_add_u32 s3, s45, s3
	s_addc_u32 s45, 0, s46
	s_add_u32 s46, s2, s3
	s_cselect_b64 s[2:3], -1, 0
	s_cmp_lg_u64 s[2:3], 0
	s_addc_u32 s44, s44, s45
	s_mul_i32 s2, s20, s44
	s_mul_hi_u32 s3, s20, s46
	s_add_i32 s2, s3, s2
	s_mul_i32 s41, s41, s46
	s_add_i32 s2, s2, s41
	s_mul_i32 s20, s20, s46
	s_mul_hi_u32 s41, s44, s20
	s_mul_i32 s45, s44, s20
	s_mul_i32 s48, s46, s2
	s_mul_hi_u32 s20, s46, s20
	s_mul_hi_u32 s47, s46, s2
	s_add_u32 s20, s20, s48
	s_addc_u32 s47, 0, s47
	s_add_u32 s20, s20, s45
	s_mul_hi_u32 s3, s44, s2
	s_addc_u32 s20, s47, s41
	s_addc_u32 s3, s3, 0
	s_mul_i32 s2, s44, s2
	s_add_u32 s2, s20, s2
	s_addc_u32 s20, 0, s3
	s_add_u32 s41, s46, s2
	s_cselect_b64 s[2:3], -1, 0
	s_cmp_lg_u64 s[2:3], 0
	s_addc_u32 s20, s44, s20
	v_xor_b32_e32 v3, v8, v6
	v_xor_b32_e32 v1, v9, v6
	v_mad_u64_u32 v[8:9], s[2:3], v3, s20, 0
	v_mul_hi_u32 v12, v3, s41
	v_lshl_add_u64 v[8:9], v[12:13], 0, v[8:9]
	v_mad_u64_u32 v[16:17], s[2:3], v1, s41, 0
	v_add_co_u32_e32 v7, vcc, v8, v16
	v_mad_u64_u32 v[12:13], s[2:3], v1, s20, 0
	s_nop 0
	v_addc_co_u32_e32 v8, vcc, v9, v17, vcc
	v_mov_b32_e32 v9, v10
	s_nop 0
	v_addc_co_u32_e32 v13, vcc, 0, v13, vcc
	v_lshl_add_u64 v[8:9], v[8:9], 0, v[12:13]
	v_mul_lo_u32 v7, s43, v8
	v_mul_lo_u32 v12, s42, v9
	v_mad_u64_u32 v[10:11], s[2:3], s42, v8, 0
	v_add3_u32 v7, v11, v12, v7
	v_sub_u32_e32 v11, v1, v7
	v_mov_b32_e32 v12, s43
	v_sub_co_u32_e32 v3, vcc, v3, v10
	s_nop 1
	v_subb_co_u32_e64 v10, s[2:3], v11, v12, vcc
	v_subrev_co_u32_e64 v11, s[2:3], s42, v3
	v_subb_co_u32_e32 v1, vcc, v1, v7, vcc
	s_nop 0
	v_subbrev_co_u32_e64 v10, s[2:3], 0, v10, s[2:3]
	v_cmp_le_u32_e64 s[2:3], s43, v10
	v_cmp_le_u32_e32 vcc, s43, v1
	s_nop 0
	v_cndmask_b32_e64 v12, 0, -1, s[2:3]
	v_cmp_le_u32_e64 s[2:3], s42, v11
	v_cndmask_b32_e64 v7, 0, -1, vcc
	v_cmp_le_u32_e32 vcc, s42, v3
	v_cndmask_b32_e64 v11, 0, -1, s[2:3]
	v_cmp_eq_u32_e64 s[2:3], s43, v10
	v_cndmask_b32_e64 v3, 0, -1, vcc
	v_cmp_eq_u32_e32 vcc, s43, v1
	v_cndmask_b32_e64 v15, v12, v11, s[2:3]
	v_lshl_add_u64 v[10:11], v[8:9], 0, 2
	v_lshl_add_u64 v[12:13], v[8:9], 0, 1
	v_cmp_ne_u32_e64 s[2:3], 0, v15
	v_cndmask_b32_e32 v1, v7, v3, vcc
	v_cmp_ne_u32_e32 vcc, 0, v1
	v_cndmask_b32_e64 v3, v12, v10, s[2:3]
	v_cndmask_b32_e64 v11, v13, v11, s[2:3]
	v_cndmask_b32_e32 v3, v8, v3, vcc
	v_xor_b32_e32 v7, s40, v6
	v_cndmask_b32_e32 v1, v9, v11, vcc
	v_xor_b32_e32 v3, v3, v7
	v_xor_b32_e32 v1, v1, v7
	v_sub_co_u32_e32 v6, vcc, v3, v7
                                        ; implicit-def: $vgpr8
	s_nop 1
	v_subb_co_u32_e32 v7, vcc, v1, v7, vcc
.LBB4_47:
	s_andn2_saveexec_b64 s[2:3], s[38:39]
	s_cbranch_execz .LBB4_49
; %bb.48:
	v_cvt_f32_u32_e32 v1, s12
	s_sub_i32 s20, 0, s12
	v_rcp_iflag_f32_e32 v1, v1
	s_nop 0
	v_mul_f32_e32 v1, 0x4f7ffffe, v1
	v_cvt_u32_f32_e32 v1, v1
	v_mul_lo_u32 v3, s20, v1
	v_mul_hi_u32 v3, v1, v3
	v_add_u32_e32 v1, v1, v3
	v_mul_hi_u32 v1, v8, v1
	v_mul_lo_u32 v3, v1, s12
	v_sub_u32_e32 v3, v8, v3
	v_add_u32_e32 v6, 1, v1
	v_subrev_u32_e32 v7, s12, v3
	v_cmp_le_u32_e32 vcc, s12, v3
	s_nop 1
	v_cndmask_b32_e32 v3, v3, v7, vcc
	v_cndmask_b32_e32 v1, v1, v6, vcc
	v_add_u32_e32 v6, 1, v1
	v_cmp_le_u32_e32 vcc, s12, v3
	v_mov_b32_e32 v7, 0
	s_nop 0
	v_cndmask_b32_e32 v6, v1, v6, vcc
.LBB4_49:
	s_or_b64 exec, exec, s[2:3]
.LBB4_50:
	s_or_b64 exec, exec, s[36:37]
	v_or_b32_e32 v9, s13, v5
	v_mov_b32_e32 v8, 0
	v_cmp_ne_u64_e32 vcc, 0, v[8:9]
                                        ; implicit-def: $vgpr10_vgpr11
	s_and_saveexec_b64 s[2:3], vcc
	s_xor_b64 s[36:37], exec, s[2:3]
	s_cbranch_execz .LBB4_52
; %bb.51:
	s_ashr_i32 s38, s13, 31
	s_add_u32 s2, s12, s38
	s_mov_b32 s39, s38
	s_addc_u32 s3, s13, s38
	s_xor_b64 s[40:41], s[2:3], s[38:39]
	v_cvt_f32_u32_e32 v1, s40
	v_cvt_f32_u32_e32 v3, s41
	s_sub_u32 s20, 0, s40
	s_subb_u32 s39, 0, s41
	v_ashrrev_i32_e32 v10, 31, v5
	v_fmamk_f32 v1, v3, 0x4f800000, v1
	v_rcp_f32_e32 v1, v1
	v_mov_b32_e32 v11, v10
	v_lshl_add_u64 v[12:13], v[4:5], 0, v[10:11]
	v_mov_b32_e32 v17, v8
	v_mul_f32_e32 v1, 0x5f7ffffc, v1
	v_mul_f32_e32 v3, 0x2f800000, v1
	v_trunc_f32_e32 v3, v3
	v_fmamk_f32 v1, v3, 0xcf800000, v1
	v_cvt_u32_f32_e32 v3, v3
	v_cvt_u32_f32_e32 v1, v1
	v_readfirstlane_b32 s42, v3
	v_readfirstlane_b32 s2, v1
	s_mul_i32 s3, s20, s42
	s_mul_hi_u32 s44, s20, s2
	s_mul_i32 s43, s39, s2
	s_add_i32 s3, s44, s3
	s_add_i32 s3, s3, s43
	s_mul_i32 s45, s20, s2
	s_mul_i32 s44, s2, s3
	s_mul_hi_u32 s46, s2, s45
	s_mul_hi_u32 s43, s2, s3
	s_add_u32 s44, s46, s44
	s_addc_u32 s43, 0, s43
	s_mul_hi_u32 s47, s42, s45
	s_mul_i32 s45, s42, s45
	s_add_u32 s44, s44, s45
	s_mul_hi_u32 s46, s42, s3
	s_addc_u32 s43, s43, s47
	s_addc_u32 s44, s46, 0
	s_mul_i32 s3, s42, s3
	s_add_u32 s3, s43, s3
	s_addc_u32 s43, 0, s44
	s_add_u32 s44, s2, s3
	s_cselect_b64 s[2:3], -1, 0
	s_cmp_lg_u64 s[2:3], 0
	s_addc_u32 s42, s42, s43
	s_mul_i32 s2, s20, s42
	s_mul_hi_u32 s3, s20, s44
	s_add_i32 s2, s3, s2
	s_mul_i32 s39, s39, s44
	s_add_i32 s2, s2, s39
	s_mul_i32 s20, s20, s44
	s_mul_hi_u32 s39, s42, s20
	s_mul_i32 s43, s42, s20
	s_mul_i32 s46, s44, s2
	s_mul_hi_u32 s20, s44, s20
	s_mul_hi_u32 s45, s44, s2
	s_add_u32 s20, s20, s46
	s_addc_u32 s45, 0, s45
	s_add_u32 s20, s20, s43
	s_mul_hi_u32 s3, s42, s2
	s_addc_u32 s20, s45, s39
	s_addc_u32 s3, s3, 0
	s_mul_i32 s2, s42, s2
	s_add_u32 s2, s20, s2
	s_addc_u32 s20, 0, s3
	s_add_u32 s39, s44, s2
	s_cselect_b64 s[2:3], -1, 0
	s_cmp_lg_u64 s[2:3], 0
	s_addc_u32 s20, s42, s20
	v_xor_b32_e32 v3, v12, v10
	v_xor_b32_e32 v1, v13, v10
	v_mad_u64_u32 v[12:13], s[2:3], v3, s20, 0
	v_mul_hi_u32 v16, v3, s39
	v_lshl_add_u64 v[12:13], v[16:17], 0, v[12:13]
	v_mad_u64_u32 v[18:19], s[2:3], v1, s39, 0
	v_add_co_u32_e32 v9, vcc, v12, v18
	v_mad_u64_u32 v[16:17], s[2:3], v1, s20, 0
	s_nop 0
	v_addc_co_u32_e32 v12, vcc, v13, v19, vcc
	v_mov_b32_e32 v13, v8
	s_nop 0
	v_addc_co_u32_e32 v17, vcc, 0, v17, vcc
	v_lshl_add_u64 v[8:9], v[12:13], 0, v[16:17]
	v_mul_lo_u32 v11, s41, v8
	v_mul_lo_u32 v15, s40, v9
	v_mad_u64_u32 v[12:13], s[2:3], s40, v8, 0
	v_add3_u32 v11, v13, v15, v11
	v_sub_u32_e32 v13, v1, v11
	v_mov_b32_e32 v15, s41
	v_sub_co_u32_e32 v3, vcc, v3, v12
	v_lshl_add_u64 v[16:17], v[8:9], 0, 1
	s_nop 0
	v_subb_co_u32_e64 v12, s[2:3], v13, v15, vcc
	v_subrev_co_u32_e64 v13, s[2:3], s40, v3
	v_subb_co_u32_e32 v1, vcc, v1, v11, vcc
	s_nop 0
	v_subbrev_co_u32_e64 v12, s[2:3], 0, v12, s[2:3]
	v_cmp_le_u32_e64 s[2:3], s41, v12
	v_cmp_le_u32_e32 vcc, s41, v1
	s_nop 0
	v_cndmask_b32_e64 v15, 0, -1, s[2:3]
	v_cmp_le_u32_e64 s[2:3], s40, v13
	v_cndmask_b32_e64 v11, 0, -1, vcc
	v_cmp_le_u32_e32 vcc, s40, v3
	v_cndmask_b32_e64 v13, 0, -1, s[2:3]
	v_cmp_eq_u32_e64 s[2:3], s41, v12
	v_cndmask_b32_e64 v3, 0, -1, vcc
	v_cmp_eq_u32_e32 vcc, s41, v1
	v_cndmask_b32_e64 v15, v15, v13, s[2:3]
	v_lshl_add_u64 v[12:13], v[8:9], 0, 2
	v_cmp_ne_u32_e64 s[2:3], 0, v15
	v_cndmask_b32_e32 v1, v11, v3, vcc
	v_cmp_ne_u32_e32 vcc, 0, v1
	v_cndmask_b32_e64 v3, v16, v12, s[2:3]
	v_cndmask_b32_e64 v13, v17, v13, s[2:3]
	v_cndmask_b32_e32 v3, v8, v3, vcc
	v_xor_b32_e32 v8, s38, v10
	v_cndmask_b32_e32 v1, v9, v13, vcc
	v_xor_b32_e32 v3, v3, v8
	v_xor_b32_e32 v1, v1, v8
	v_sub_co_u32_e32 v10, vcc, v3, v8
	s_nop 1
	v_subb_co_u32_e32 v11, vcc, v1, v8, vcc
.LBB4_52:
	s_andn2_saveexec_b64 s[2:3], s[36:37]
	s_cbranch_execz .LBB4_54
; %bb.53:
	v_cvt_f32_u32_e32 v1, s12
	s_sub_i32 s20, 0, s12
	v_mov_b32_e32 v11, 0
	v_rcp_iflag_f32_e32 v1, v1
	s_nop 0
	v_mul_f32_e32 v1, 0x4f7ffffe, v1
	v_cvt_u32_f32_e32 v1, v1
	v_mul_lo_u32 v3, s20, v1
	v_mul_hi_u32 v3, v1, v3
	v_add_u32_e32 v1, v1, v3
	v_mul_hi_u32 v1, v4, v1
	v_mul_lo_u32 v3, v1, s12
	v_sub_u32_e32 v3, v4, v3
	v_add_u32_e32 v8, 1, v1
	v_subrev_u32_e32 v9, s12, v3
	v_cmp_le_u32_e32 vcc, s12, v3
	s_nop 1
	v_cndmask_b32_e32 v3, v3, v9, vcc
	v_cndmask_b32_e32 v1, v1, v8, vcc
	v_add_u32_e32 v8, 1, v1
	v_cmp_le_u32_e32 vcc, s12, v3
	s_nop 1
	v_cndmask_b32_e32 v10, v1, v8, vcc
.LBB4_54:
	s_or_b64 exec, exec, s[2:3]
	v_mul_lo_u32 v1, v7, s12
	v_mul_lo_u32 v3, v6, s13
	v_mad_u64_u32 v[8:9], s[2:3], v6, s12, 0
	v_add3_u32 v9, v9, v3, v1
	v_cmp_gt_i64_e32 vcc, v[8:9], v[4:5]
	v_mov_b64_e32 v[8:9], s[10:11]
	v_mad_u64_u32 v[8:9], s[2:3], v6, s12, v[8:9]
	v_add3_u32 v9, v1, v9, v3
	v_cmp_ge_i64_e64 s[2:3], v[4:5], v[8:9]
	s_or_b64 s[2:3], vcc, s[2:3]
	v_mov_b32_e32 v1, s15
	v_cndmask_b32_e64 v8, 0, 1, s[2:3]
	s_mov_b32 s2, 0
	v_mov_b32_e32 v9, s2
	v_cmp_gt_i64_e32 vcc, s[14:15], v[10:11]
	v_lshl_add_u64 v[12:13], v[6:7], 0, v[8:9]
	s_nop 0
	v_cndmask_b32_e32 v7, v1, v11, vcc
	v_mov_b32_e32 v1, s14
	v_cndmask_b32_e32 v6, v1, v10, vcc
	v_cmp_le_i64_e32 vcc, v[12:13], v[6:7]
	s_and_saveexec_b64 s[2:3], vcc
	s_cbranch_execz .LBB4_57
; %bb.55:
	global_load_ushort v10, v2, s[4:5]
	v_mul_lo_u32 v11, s13, v12
	v_mul_lo_u32 v15, s12, v13
	v_mad_u64_u32 v[16:17], s[36:37], s12, v12, 0
	v_add3_u32 v11, v17, v15, v11
	v_sub_co_u32_e32 v4, vcc, v4, v16
	v_mov_b32_e32 v3, 0
	s_nop 0
	v_subb_co_u32_e32 v5, vcc, v5, v11, vcc
	v_mul_lo_u32 v11, s19, v4
	v_mul_lo_u32 v15, s18, v5
	v_mad_u64_u32 v[4:5], s[36:37], s18, v4, 0
	v_lshl_add_u64 v[8:9], s[4:5], 0, v[2:3]
	v_mov_b32_e32 v1, v3
	v_lshl_add_u64 v[2:3], v[12:13], 0, -1
	v_add3_u32 v5, v5, v15, v11
	v_mul_lo_u32 v11, s17, v12
	v_mul_lo_u32 v15, s16, v13
	v_mad_u64_u32 v[12:13], s[36:37], s16, v12, 0
	s_mul_i32 s20, s12, s19
	s_mul_hi_u32 s38, s12, s18
	v_add3_u32 v13, v13, v15, v11
	s_add_i32 s20, s38, s20
	s_mul_i32 s38, s13, s18
	v_lshlrev_b64 v[12:13], 1, v[12:13]
	s_add_i32 s39, s20, s38
	s_mul_i32 s38, s12, s18
	v_lshl_add_u64 v[4:5], v[4:5], 1, v[12:13]
	s_lshl_b64 s[36:37], s[16:17], 1
	s_lshl_b64 s[38:39], s[38:39], 1
	v_lshl_add_u64 v[0:1], v[4:5], 0, v[0:1]
	s_sub_u32 s36, s36, s38
	v_lshl_add_u64 v[0:1], s[6:7], 0, v[0:1]
	s_subb_u32 s37, s37, s39
	s_mov_b64 s[38:39], 0
.LBB4_56:                               ; =>This Inner Loop Header: Depth=1
	global_load_ushort v4, v[0:1], off
	v_lshl_add_u64 v[2:3], v[2:3], 0, 1
	v_cmp_ge_i64_e32 vcc, v[2:3], v[6:7]
	v_lshl_add_u64 v[0:1], v[0:1], 0, s[36:37]
	s_or_b64 s[38:39], vcc, s[38:39]
	s_waitcnt vmcnt(0)
	v_add_u16_e32 v10, v4, v10
	global_store_short v[8:9], v10, off
	s_andn2_b64 exec, exec, s[38:39]
	s_cbranch_execnz .LBB4_56
.LBB4_57:
	s_or_b64 exec, exec, s[2:3]
	v_add_u32_e32 v14, 0x100, v14
	s_or_b64 exec, exec, s[66:67]
	v_cmp_gt_i32_e32 vcc, s70, v14
	s_and_saveexec_b64 s[66:67], vcc
	s_cbranch_execz .LBB4_3
.LBB4_58:
	s_and_b64 vcc, exec, s[0:1]
	s_cbranch_vccnz .LBB4_64
; %bb.59:
	v_mov_b32_e32 v4, 0
	s_andn2_b64 vcc, exec, s[64:65]
	v_mov_b32_e32 v0, 0
	v_mov_b32_e32 v2, 0
	s_cbranch_vccnz .LBB4_68
; %bb.60:
	s_add_i32 s71, s69, 1
	s_cmp_eq_u32 s68, 2
	s_cbranch_scc1 .LBB4_65
; %bb.61:
	s_and_b32 s20, s71, 28
	v_mov_b32_e32 v2, 0
	s_mov_b32 s72, 0
	s_mov_b64 s[2:3], s[62:63]
	v_mov_b32_e32 v6, v14
	v_mov_b32_e32 v0, 0
	;; [unrolled: 1-line block ×3, first 2 shown]
.LBB4_62:                               ; =>This Inner Loop Header: Depth=1
	s_load_dwordx8 s[36:43], s[2:3], 0x0
	s_load_dwordx4 s[52:55], s[2:3], 0x20
	s_load_dwordx4 s[56:59], s[2:3], 0xe0
	s_load_dwordx8 s[44:51], s[2:3], 0xc0
	s_add_i32 s72, s72, 4
	s_waitcnt lgkmcnt(0)
	v_mul_hi_u32 v1, s37, v6
	v_add_u32_e32 v1, v6, v1
	v_lshrrev_b32_e32 v1, s38, v1
	v_mul_hi_u32 v5, s40, v1
	v_add_u32_e32 v5, v1, v5
	v_lshrrev_b32_e32 v5, s41, v5
	v_mul_lo_u32 v3, v1, s36
	v_mul_lo_u32 v8, v5, s39
	v_mul_hi_u32 v9, s43, v5
	v_sub_u32_e32 v3, v6, v3
	v_sub_u32_e32 v1, v1, v8
	v_add_u32_e32 v8, v5, v9
	v_mul_lo_u32 v6, v3, s44
	v_mul_lo_u32 v7, v3, s46
	;; [unrolled: 1-line block ×6, first 2 shown]
	v_lshrrev_b32_e32 v8, s52, v8
	v_add3_u32 v0, v3, v0, v1
	v_add3_u32 v1, v7, v4, v10
	v_mul_hi_u32 v4, s54, v8
	v_add_u32_e32 v4, v8, v4
	v_add3_u32 v2, v6, v2, v9
	v_lshrrev_b32_e32 v6, s55, v4
	v_mul_lo_u32 v3, v8, s42
	v_mul_lo_u32 v4, v6, s53
	s_add_u32 s2, s2, 48
	v_sub_u32_e32 v3, v5, v3
	v_sub_u32_e32 v4, v8, v4
	s_addc_u32 s3, s3, 0
	v_mul_lo_u32 v5, v3, s50
	v_mul_lo_u32 v7, v3, s51
	;; [unrolled: 1-line block ×6, first 2 shown]
	s_cmp_eq_u32 s20, s72
	v_add3_u32 v2, v5, v2, v8
	v_add3_u32 v4, v3, v1, v4
	;; [unrolled: 1-line block ×3, first 2 shown]
	s_cbranch_scc0 .LBB4_62
; %bb.63:
	v_mov_b32_e32 v1, v4
	s_and_b32 s36, s71, 3
	s_cmp_eq_u32 s36, 0
	s_cbranch_scc0 .LBB4_66
	s_branch .LBB4_68
.LBB4_64:
                                        ; implicit-def: $vgpr4
                                        ; implicit-def: $vgpr0
                                        ; implicit-def: $vgpr2
	s_branch .LBB4_69
.LBB4_65:
	v_mov_b32_e32 v0, 0
	s_mov_b32 s20, 0
	v_mov_b32_e32 v1, v0
                                        ; implicit-def: $vgpr4
	v_mov_b32_e32 v6, v14
	v_mov_b32_e32 v2, v0
	s_and_b32 s36, s71, 3
	s_cmp_eq_u32 s36, 0
	s_cbranch_scc1 .LBB4_68
.LBB4_66:
	s_mul_i32 s2, s20, 12
	s_add_u32 s2, s27, s2
	s_addc_u32 s3, s33, 0
	s_add_u32 s2, s2, 4
	s_addc_u32 s3, s3, 0
.LBB4_67:                               ; =>This Inner Loop Header: Depth=1
	s_load_dwordx2 s[38:39], s[2:3], 0x0
	s_load_dword s20, s[2:3], 0x8
	s_load_dwordx2 s[40:41], s[2:3], 0xc0
	s_load_dword s37, s[2:3], 0xc8
	v_mov_b32_e32 v4, v1
	s_waitcnt lgkmcnt(0)
	v_mul_hi_u32 v1, s39, v6
	v_add_u32_e32 v1, v6, v1
	v_lshrrev_b32_e32 v1, s20, v1
	v_mul_lo_u32 v3, v1, s38
	s_add_u32 s2, s2, 12
	v_sub_u32_e32 v7, v6, v3
	s_addc_u32 s3, s3, 0
	s_add_i32 s36, s36, -1
	v_mov_b32_e32 v6, v1
	v_mad_u64_u32 v[4:5], s[38:39], v7, s37, v[4:5]
	v_mad_u64_u32 v[0:1], s[38:39], v7, s41, v[0:1]
	s_cmp_lg_u32 s36, 0
	v_mad_u64_u32 v[2:3], s[38:39], v7, s40, v[2:3]
	v_mov_b32_e32 v1, v4
	s_cbranch_scc1 .LBB4_67
.LBB4_68:
	s_cbranch_execnz .LBB4_71
.LBB4_69:
	v_mul_hi_u32 v0, s22, v14
	v_add_u32_e32 v0, v14, v0
	v_lshrrev_b32_e32 v1, s23, v0
	v_mul_lo_u32 v0, v1, s21
	v_sub_u32_e32 v0, v14, v0
	v_mul_lo_u32 v2, v0, s28
	v_mul_lo_u32 v4, v0, s30
	s_andn2_b64 vcc, exec, s[60:61]
	v_mul_lo_u32 v0, v0, s29
	s_cbranch_vccnz .LBB4_71
; %bb.70:
	v_mul_hi_u32 v3, s25, v1
	v_add_u32_e32 v3, v1, v3
	v_lshrrev_b32_e32 v3, s26, v3
	v_mul_lo_u32 v3, v3, s24
	v_sub_u32_e32 v5, v1, v3
	v_mad_u64_u32 v[2:3], s[2:3], v5, s31, v[2:3]
	v_mad_u64_u32 v[0:1], s[2:3], v5, s34, v[0:1]
	;; [unrolled: 1-line block ×3, first 2 shown]
.LBB4_71:
	global_load_dwordx2 v[4:5], v4, s[8:9]
	v_mov_b64_e32 v[6:7], 0
	s_waitcnt vmcnt(0)
	v_cmp_lt_i64_e32 vcc, s[10:11], v[4:5]
	s_and_saveexec_b64 s[36:37], vcc
	s_cbranch_execz .LBB4_77
; %bb.72:
	v_mov_b32_e32 v1, s11
	v_subrev_co_u32_e32 v8, vcc, s10, v4
	v_mov_b32_e32 v10, 0
	s_nop 0
	v_subb_co_u32_e32 v9, vcc, v5, v1, vcc
	v_or_b32_e32 v11, s13, v9
	v_cmp_ne_u64_e32 vcc, 0, v[10:11]
                                        ; implicit-def: $vgpr6_vgpr7
	s_and_saveexec_b64 s[2:3], vcc
	s_xor_b64 s[38:39], exec, s[2:3]
	s_cbranch_execz .LBB4_74
; %bb.73:
	s_ashr_i32 s40, s13, 31
	s_add_u32 s2, s12, s40
	s_mov_b32 s41, s40
	s_addc_u32 s3, s13, s40
	s_xor_b64 s[42:43], s[2:3], s[40:41]
	v_cvt_f32_u32_e32 v1, s42
	v_cvt_f32_u32_e32 v3, s43
	s_sub_u32 s20, 0, s42
	s_subb_u32 s41, 0, s43
	v_ashrrev_i32_e32 v6, 31, v9
	v_fmamk_f32 v1, v3, 0x4f800000, v1
	v_rcp_f32_e32 v1, v1
	v_mov_b32_e32 v7, v6
	v_lshl_add_u64 v[8:9], v[8:9], 0, v[6:7]
	v_mov_b32_e32 v13, v10
	v_mul_f32_e32 v1, 0x5f7ffffc, v1
	v_mul_f32_e32 v3, 0x2f800000, v1
	v_trunc_f32_e32 v3, v3
	v_fmamk_f32 v1, v3, 0xcf800000, v1
	v_cvt_u32_f32_e32 v3, v3
	v_cvt_u32_f32_e32 v1, v1
	v_readfirstlane_b32 s44, v3
	v_readfirstlane_b32 s2, v1
	s_mul_i32 s3, s20, s44
	s_mul_hi_u32 s46, s20, s2
	s_mul_i32 s45, s41, s2
	s_add_i32 s3, s46, s3
	s_add_i32 s3, s3, s45
	s_mul_i32 s47, s20, s2
	s_mul_i32 s46, s2, s3
	s_mul_hi_u32 s48, s2, s47
	s_mul_hi_u32 s45, s2, s3
	s_add_u32 s46, s48, s46
	s_addc_u32 s45, 0, s45
	s_mul_hi_u32 s49, s44, s47
	s_mul_i32 s47, s44, s47
	s_add_u32 s46, s46, s47
	s_mul_hi_u32 s48, s44, s3
	s_addc_u32 s45, s45, s49
	s_addc_u32 s46, s48, 0
	s_mul_i32 s3, s44, s3
	s_add_u32 s3, s45, s3
	s_addc_u32 s45, 0, s46
	s_add_u32 s46, s2, s3
	s_cselect_b64 s[2:3], -1, 0
	s_cmp_lg_u64 s[2:3], 0
	s_addc_u32 s44, s44, s45
	s_mul_i32 s2, s20, s44
	s_mul_hi_u32 s3, s20, s46
	s_add_i32 s2, s3, s2
	s_mul_i32 s41, s41, s46
	s_add_i32 s2, s2, s41
	s_mul_i32 s20, s20, s46
	s_mul_hi_u32 s41, s44, s20
	s_mul_i32 s45, s44, s20
	s_mul_i32 s48, s46, s2
	s_mul_hi_u32 s20, s46, s20
	s_mul_hi_u32 s47, s46, s2
	s_add_u32 s20, s20, s48
	s_addc_u32 s47, 0, s47
	s_add_u32 s20, s20, s45
	s_mul_hi_u32 s3, s44, s2
	s_addc_u32 s20, s47, s41
	s_addc_u32 s3, s3, 0
	s_mul_i32 s2, s44, s2
	s_add_u32 s2, s20, s2
	s_addc_u32 s20, 0, s3
	s_add_u32 s41, s46, s2
	s_cselect_b64 s[2:3], -1, 0
	s_cmp_lg_u64 s[2:3], 0
	s_addc_u32 s20, s44, s20
	v_xor_b32_e32 v3, v8, v6
	v_xor_b32_e32 v1, v9, v6
	v_mad_u64_u32 v[8:9], s[2:3], v3, s20, 0
	v_mul_hi_u32 v12, v3, s41
	v_lshl_add_u64 v[8:9], v[12:13], 0, v[8:9]
	v_mad_u64_u32 v[16:17], s[2:3], v1, s41, 0
	v_add_co_u32_e32 v7, vcc, v8, v16
	v_mad_u64_u32 v[12:13], s[2:3], v1, s20, 0
	s_nop 0
	v_addc_co_u32_e32 v8, vcc, v9, v17, vcc
	v_mov_b32_e32 v9, v10
	s_nop 0
	v_addc_co_u32_e32 v13, vcc, 0, v13, vcc
	v_lshl_add_u64 v[8:9], v[8:9], 0, v[12:13]
	v_mul_lo_u32 v7, s43, v8
	v_mul_lo_u32 v12, s42, v9
	v_mad_u64_u32 v[10:11], s[2:3], s42, v8, 0
	v_add3_u32 v7, v11, v12, v7
	v_sub_u32_e32 v11, v1, v7
	v_mov_b32_e32 v12, s43
	v_sub_co_u32_e32 v3, vcc, v3, v10
	s_nop 1
	v_subb_co_u32_e64 v10, s[2:3], v11, v12, vcc
	v_subrev_co_u32_e64 v11, s[2:3], s42, v3
	v_subb_co_u32_e32 v1, vcc, v1, v7, vcc
	s_nop 0
	v_subbrev_co_u32_e64 v10, s[2:3], 0, v10, s[2:3]
	v_cmp_le_u32_e64 s[2:3], s43, v10
	v_cmp_le_u32_e32 vcc, s43, v1
	s_nop 0
	v_cndmask_b32_e64 v12, 0, -1, s[2:3]
	v_cmp_le_u32_e64 s[2:3], s42, v11
	v_cndmask_b32_e64 v7, 0, -1, vcc
	v_cmp_le_u32_e32 vcc, s42, v3
	v_cndmask_b32_e64 v11, 0, -1, s[2:3]
	v_cmp_eq_u32_e64 s[2:3], s43, v10
	v_cndmask_b32_e64 v3, 0, -1, vcc
	v_cmp_eq_u32_e32 vcc, s43, v1
	v_cndmask_b32_e64 v15, v12, v11, s[2:3]
	v_lshl_add_u64 v[10:11], v[8:9], 0, 2
	v_lshl_add_u64 v[12:13], v[8:9], 0, 1
	v_cmp_ne_u32_e64 s[2:3], 0, v15
	v_cndmask_b32_e32 v1, v7, v3, vcc
	v_cmp_ne_u32_e32 vcc, 0, v1
	v_cndmask_b32_e64 v3, v12, v10, s[2:3]
	v_cndmask_b32_e64 v11, v13, v11, s[2:3]
	v_cndmask_b32_e32 v3, v8, v3, vcc
	v_xor_b32_e32 v7, s40, v6
	v_cndmask_b32_e32 v1, v9, v11, vcc
	v_xor_b32_e32 v3, v3, v7
	v_xor_b32_e32 v1, v1, v7
	v_sub_co_u32_e32 v6, vcc, v3, v7
                                        ; implicit-def: $vgpr8
	s_nop 1
	v_subb_co_u32_e32 v7, vcc, v1, v7, vcc
.LBB4_74:
	s_andn2_saveexec_b64 s[2:3], s[38:39]
	s_cbranch_execz .LBB4_76
; %bb.75:
	v_cvt_f32_u32_e32 v1, s12
	s_sub_i32 s20, 0, s12
	v_rcp_iflag_f32_e32 v1, v1
	s_nop 0
	v_mul_f32_e32 v1, 0x4f7ffffe, v1
	v_cvt_u32_f32_e32 v1, v1
	v_mul_lo_u32 v3, s20, v1
	v_mul_hi_u32 v3, v1, v3
	v_add_u32_e32 v1, v1, v3
	v_mul_hi_u32 v1, v8, v1
	v_mul_lo_u32 v3, v1, s12
	v_sub_u32_e32 v3, v8, v3
	v_add_u32_e32 v6, 1, v1
	v_subrev_u32_e32 v7, s12, v3
	v_cmp_le_u32_e32 vcc, s12, v3
	s_nop 1
	v_cndmask_b32_e32 v3, v3, v7, vcc
	v_cndmask_b32_e32 v1, v1, v6, vcc
	v_add_u32_e32 v6, 1, v1
	v_cmp_le_u32_e32 vcc, s12, v3
	v_mov_b32_e32 v7, 0
	s_nop 0
	v_cndmask_b32_e32 v6, v1, v6, vcc
.LBB4_76:
	s_or_b64 exec, exec, s[2:3]
.LBB4_77:
	s_or_b64 exec, exec, s[36:37]
	v_or_b32_e32 v9, s13, v5
	v_mov_b32_e32 v8, 0
	v_cmp_ne_u64_e32 vcc, 0, v[8:9]
                                        ; implicit-def: $vgpr10_vgpr11
	s_and_saveexec_b64 s[2:3], vcc
	s_xor_b64 s[36:37], exec, s[2:3]
	s_cbranch_execz .LBB4_79
; %bb.78:
	s_ashr_i32 s38, s13, 31
	s_add_u32 s2, s12, s38
	s_mov_b32 s39, s38
	s_addc_u32 s3, s13, s38
	s_xor_b64 s[40:41], s[2:3], s[38:39]
	v_cvt_f32_u32_e32 v1, s40
	v_cvt_f32_u32_e32 v3, s41
	s_sub_u32 s20, 0, s40
	s_subb_u32 s39, 0, s41
	v_ashrrev_i32_e32 v10, 31, v5
	v_fmamk_f32 v1, v3, 0x4f800000, v1
	v_rcp_f32_e32 v1, v1
	v_mov_b32_e32 v11, v10
	v_lshl_add_u64 v[12:13], v[4:5], 0, v[10:11]
	v_mov_b32_e32 v17, v8
	v_mul_f32_e32 v1, 0x5f7ffffc, v1
	v_mul_f32_e32 v3, 0x2f800000, v1
	v_trunc_f32_e32 v3, v3
	v_fmamk_f32 v1, v3, 0xcf800000, v1
	v_cvt_u32_f32_e32 v3, v3
	v_cvt_u32_f32_e32 v1, v1
	v_readfirstlane_b32 s42, v3
	v_readfirstlane_b32 s2, v1
	s_mul_i32 s3, s20, s42
	s_mul_hi_u32 s44, s20, s2
	s_mul_i32 s43, s39, s2
	s_add_i32 s3, s44, s3
	s_add_i32 s3, s3, s43
	s_mul_i32 s45, s20, s2
	s_mul_i32 s44, s2, s3
	s_mul_hi_u32 s46, s2, s45
	s_mul_hi_u32 s43, s2, s3
	s_add_u32 s44, s46, s44
	s_addc_u32 s43, 0, s43
	s_mul_hi_u32 s47, s42, s45
	s_mul_i32 s45, s42, s45
	s_add_u32 s44, s44, s45
	s_mul_hi_u32 s46, s42, s3
	s_addc_u32 s43, s43, s47
	s_addc_u32 s44, s46, 0
	s_mul_i32 s3, s42, s3
	s_add_u32 s3, s43, s3
	s_addc_u32 s43, 0, s44
	s_add_u32 s44, s2, s3
	s_cselect_b64 s[2:3], -1, 0
	s_cmp_lg_u64 s[2:3], 0
	s_addc_u32 s42, s42, s43
	s_mul_i32 s2, s20, s42
	s_mul_hi_u32 s3, s20, s44
	s_add_i32 s2, s3, s2
	s_mul_i32 s39, s39, s44
	s_add_i32 s2, s2, s39
	s_mul_i32 s20, s20, s44
	s_mul_hi_u32 s39, s42, s20
	s_mul_i32 s43, s42, s20
	s_mul_i32 s46, s44, s2
	s_mul_hi_u32 s20, s44, s20
	s_mul_hi_u32 s45, s44, s2
	s_add_u32 s20, s20, s46
	s_addc_u32 s45, 0, s45
	s_add_u32 s20, s20, s43
	s_mul_hi_u32 s3, s42, s2
	s_addc_u32 s20, s45, s39
	s_addc_u32 s3, s3, 0
	s_mul_i32 s2, s42, s2
	s_add_u32 s2, s20, s2
	s_addc_u32 s20, 0, s3
	s_add_u32 s39, s44, s2
	s_cselect_b64 s[2:3], -1, 0
	s_cmp_lg_u64 s[2:3], 0
	s_addc_u32 s20, s42, s20
	v_xor_b32_e32 v3, v12, v10
	v_xor_b32_e32 v1, v13, v10
	v_mad_u64_u32 v[12:13], s[2:3], v3, s20, 0
	v_mul_hi_u32 v16, v3, s39
	v_lshl_add_u64 v[12:13], v[16:17], 0, v[12:13]
	v_mad_u64_u32 v[18:19], s[2:3], v1, s39, 0
	v_add_co_u32_e32 v9, vcc, v12, v18
	v_mad_u64_u32 v[16:17], s[2:3], v1, s20, 0
	s_nop 0
	v_addc_co_u32_e32 v12, vcc, v13, v19, vcc
	v_mov_b32_e32 v13, v8
	s_nop 0
	v_addc_co_u32_e32 v17, vcc, 0, v17, vcc
	v_lshl_add_u64 v[8:9], v[12:13], 0, v[16:17]
	v_mul_lo_u32 v11, s41, v8
	v_mul_lo_u32 v15, s40, v9
	v_mad_u64_u32 v[12:13], s[2:3], s40, v8, 0
	v_add3_u32 v11, v13, v15, v11
	v_sub_u32_e32 v13, v1, v11
	v_mov_b32_e32 v15, s41
	v_sub_co_u32_e32 v3, vcc, v3, v12
	v_lshl_add_u64 v[16:17], v[8:9], 0, 1
	s_nop 0
	v_subb_co_u32_e64 v12, s[2:3], v13, v15, vcc
	v_subrev_co_u32_e64 v13, s[2:3], s40, v3
	v_subb_co_u32_e32 v1, vcc, v1, v11, vcc
	s_nop 0
	v_subbrev_co_u32_e64 v12, s[2:3], 0, v12, s[2:3]
	v_cmp_le_u32_e64 s[2:3], s41, v12
	v_cmp_le_u32_e32 vcc, s41, v1
	s_nop 0
	v_cndmask_b32_e64 v15, 0, -1, s[2:3]
	v_cmp_le_u32_e64 s[2:3], s40, v13
	v_cndmask_b32_e64 v11, 0, -1, vcc
	v_cmp_le_u32_e32 vcc, s40, v3
	v_cndmask_b32_e64 v13, 0, -1, s[2:3]
	v_cmp_eq_u32_e64 s[2:3], s41, v12
	v_cndmask_b32_e64 v3, 0, -1, vcc
	v_cmp_eq_u32_e32 vcc, s41, v1
	v_cndmask_b32_e64 v15, v15, v13, s[2:3]
	v_lshl_add_u64 v[12:13], v[8:9], 0, 2
	v_cmp_ne_u32_e64 s[2:3], 0, v15
	v_cndmask_b32_e32 v1, v11, v3, vcc
	v_cmp_ne_u32_e32 vcc, 0, v1
	v_cndmask_b32_e64 v3, v16, v12, s[2:3]
	v_cndmask_b32_e64 v13, v17, v13, s[2:3]
	v_cndmask_b32_e32 v3, v8, v3, vcc
	v_xor_b32_e32 v8, s38, v10
	v_cndmask_b32_e32 v1, v9, v13, vcc
	v_xor_b32_e32 v3, v3, v8
	v_xor_b32_e32 v1, v1, v8
	v_sub_co_u32_e32 v10, vcc, v3, v8
	s_nop 1
	v_subb_co_u32_e32 v11, vcc, v1, v8, vcc
.LBB4_79:
	s_andn2_saveexec_b64 s[2:3], s[36:37]
	s_cbranch_execz .LBB4_81
; %bb.80:
	v_cvt_f32_u32_e32 v1, s12
	s_sub_i32 s20, 0, s12
	v_mov_b32_e32 v11, 0
	v_rcp_iflag_f32_e32 v1, v1
	s_nop 0
	v_mul_f32_e32 v1, 0x4f7ffffe, v1
	v_cvt_u32_f32_e32 v1, v1
	v_mul_lo_u32 v3, s20, v1
	v_mul_hi_u32 v3, v1, v3
	v_add_u32_e32 v1, v1, v3
	v_mul_hi_u32 v1, v4, v1
	v_mul_lo_u32 v3, v1, s12
	v_sub_u32_e32 v3, v4, v3
	v_add_u32_e32 v8, 1, v1
	v_subrev_u32_e32 v9, s12, v3
	v_cmp_le_u32_e32 vcc, s12, v3
	s_nop 1
	v_cndmask_b32_e32 v3, v3, v9, vcc
	v_cndmask_b32_e32 v1, v1, v8, vcc
	v_add_u32_e32 v8, 1, v1
	v_cmp_le_u32_e32 vcc, s12, v3
	s_nop 1
	v_cndmask_b32_e32 v10, v1, v8, vcc
.LBB4_81:
	s_or_b64 exec, exec, s[2:3]
	v_mul_lo_u32 v1, v7, s12
	v_mul_lo_u32 v3, v6, s13
	v_mad_u64_u32 v[8:9], s[2:3], v6, s12, 0
	v_add3_u32 v9, v9, v3, v1
	v_cmp_gt_i64_e32 vcc, v[8:9], v[4:5]
	v_mov_b64_e32 v[8:9], s[10:11]
	v_mad_u64_u32 v[8:9], s[2:3], v6, s12, v[8:9]
	v_add3_u32 v9, v1, v9, v3
	v_cmp_ge_i64_e64 s[2:3], v[4:5], v[8:9]
	s_or_b64 s[2:3], vcc, s[2:3]
	v_mov_b32_e32 v1, s15
	v_cndmask_b32_e64 v8, 0, 1, s[2:3]
	s_mov_b32 s2, 0
	v_mov_b32_e32 v9, s2
	v_cmp_gt_i64_e32 vcc, s[14:15], v[10:11]
	v_lshl_add_u64 v[12:13], v[6:7], 0, v[8:9]
	s_nop 0
	v_cndmask_b32_e32 v7, v1, v11, vcc
	v_mov_b32_e32 v1, s14
	v_cndmask_b32_e32 v6, v1, v10, vcc
	v_cmp_le_i64_e32 vcc, v[12:13], v[6:7]
	s_and_saveexec_b64 s[2:3], vcc
	s_cbranch_execz .LBB4_84
; %bb.82:
	global_load_ushort v10, v2, s[4:5]
	v_mul_lo_u32 v11, s13, v12
	v_mul_lo_u32 v15, s12, v13
	v_mad_u64_u32 v[16:17], s[36:37], s12, v12, 0
	v_add3_u32 v11, v17, v15, v11
	v_sub_co_u32_e32 v4, vcc, v4, v16
	v_mov_b32_e32 v3, 0
	s_nop 0
	v_subb_co_u32_e32 v5, vcc, v5, v11, vcc
	v_mul_lo_u32 v11, s19, v4
	v_mul_lo_u32 v15, s18, v5
	v_mad_u64_u32 v[4:5], s[36:37], s18, v4, 0
	v_lshl_add_u64 v[8:9], s[4:5], 0, v[2:3]
	v_mov_b32_e32 v1, v3
	v_lshl_add_u64 v[2:3], v[12:13], 0, -1
	v_add3_u32 v5, v5, v15, v11
	v_mul_lo_u32 v11, s17, v12
	v_mul_lo_u32 v15, s16, v13
	v_mad_u64_u32 v[12:13], s[36:37], s16, v12, 0
	s_mul_i32 s20, s12, s19
	s_mul_hi_u32 s38, s12, s18
	v_add3_u32 v13, v13, v15, v11
	s_add_i32 s20, s38, s20
	s_mul_i32 s38, s13, s18
	v_lshlrev_b64 v[12:13], 1, v[12:13]
	s_add_i32 s39, s20, s38
	s_mul_i32 s38, s12, s18
	v_lshl_add_u64 v[4:5], v[4:5], 1, v[12:13]
	s_lshl_b64 s[36:37], s[16:17], 1
	s_lshl_b64 s[38:39], s[38:39], 1
	v_lshl_add_u64 v[0:1], v[4:5], 0, v[0:1]
	s_sub_u32 s36, s36, s38
	v_lshl_add_u64 v[0:1], s[6:7], 0, v[0:1]
	s_subb_u32 s37, s37, s39
	s_mov_b64 s[38:39], 0
.LBB4_83:                               ; =>This Inner Loop Header: Depth=1
	global_load_ushort v4, v[0:1], off
	v_lshl_add_u64 v[2:3], v[2:3], 0, 1
	v_cmp_ge_i64_e32 vcc, v[2:3], v[6:7]
	v_lshl_add_u64 v[0:1], v[0:1], 0, s[36:37]
	s_or_b64 s[38:39], vcc, s[38:39]
	s_waitcnt vmcnt(0)
	v_add_u16_e32 v10, v4, v10
	global_store_short v[8:9], v10, off
	s_andn2_b64 exec, exec, s[38:39]
	s_cbranch_execnz .LBB4_83
.LBB4_84:
	s_or_b64 exec, exec, s[2:3]
	v_add_u32_e32 v14, 0x100, v14
	s_or_b64 exec, exec, s[66:67]
	v_cmp_gt_i32_e32 vcc, s70, v14
	s_and_saveexec_b64 s[2:3], vcc
	s_cbranch_execz .LBB4_111
.LBB4_85:
	s_and_b64 vcc, exec, s[0:1]
	s_cbranch_vccnz .LBB4_91
; %bb.86:
	v_mov_b32_e32 v4, 0
	s_andn2_b64 vcc, exec, s[64:65]
	v_mov_b32_e32 v0, 0
	v_mov_b32_e32 v2, 0
	s_cbranch_vccnz .LBB4_95
; %bb.87:
	s_add_i32 s69, s69, 1
	s_cmp_eq_u32 s68, 2
	s_cbranch_scc1 .LBB4_92
; %bb.88:
	s_and_b32 s20, s69, 28
	v_mov_b32_e32 v2, 0
	s_mov_b32 s56, 0
	v_mov_b32_e32 v6, v14
	v_mov_b32_e32 v0, 0
	;; [unrolled: 1-line block ×3, first 2 shown]
.LBB4_89:                               ; =>This Inner Loop Header: Depth=1
	s_load_dwordx8 s[36:43], s[62:63], 0x0
	s_load_dwordx4 s[0:3], s[62:63], 0x20
	s_load_dwordx4 s[52:55], s[62:63], 0xe0
	s_load_dwordx8 s[44:51], s[62:63], 0xc0
	s_add_i32 s56, s56, 4
	s_waitcnt lgkmcnt(0)
	v_mul_hi_u32 v1, s37, v6
	v_add_u32_e32 v1, v6, v1
	v_lshrrev_b32_e32 v1, s38, v1
	v_mul_hi_u32 v5, s40, v1
	v_add_u32_e32 v5, v1, v5
	v_lshrrev_b32_e32 v5, s41, v5
	v_mul_lo_u32 v3, v1, s36
	v_mul_lo_u32 v8, v5, s39
	v_mul_hi_u32 v9, s43, v5
	v_sub_u32_e32 v3, v6, v3
	v_sub_u32_e32 v1, v1, v8
	v_add_u32_e32 v8, v5, v9
	v_mul_lo_u32 v6, v3, s44
	v_mul_lo_u32 v7, v3, s46
	;; [unrolled: 1-line block ×6, first 2 shown]
	v_lshrrev_b32_e32 v8, s0, v8
	v_add3_u32 v0, v3, v0, v1
	v_add3_u32 v1, v7, v4, v10
	v_mul_hi_u32 v4, s2, v8
	v_add_u32_e32 v4, v8, v4
	v_add3_u32 v2, v6, v2, v9
	v_lshrrev_b32_e32 v6, s3, v4
	v_mul_lo_u32 v3, v8, s42
	v_mul_lo_u32 v4, v6, s1
	s_add_u32 s62, s62, 48
	v_sub_u32_e32 v3, v5, v3
	v_sub_u32_e32 v4, v8, v4
	s_addc_u32 s63, s63, 0
	v_mul_lo_u32 v5, v3, s50
	v_mul_lo_u32 v7, v3, s51
	;; [unrolled: 1-line block ×6, first 2 shown]
	s_cmp_eq_u32 s20, s56
	v_add3_u32 v2, v5, v2, v8
	v_add3_u32 v4, v3, v1, v4
	;; [unrolled: 1-line block ×3, first 2 shown]
	s_cbranch_scc0 .LBB4_89
; %bb.90:
	v_mov_b32_e32 v1, v4
	s_and_b32 s2, s69, 3
	s_cmp_eq_u32 s2, 0
	s_cbranch_scc0 .LBB4_93
	s_branch .LBB4_95
.LBB4_91:
                                        ; implicit-def: $vgpr4
                                        ; implicit-def: $vgpr0
                                        ; implicit-def: $vgpr2
	s_branch .LBB4_96
.LBB4_92:
	v_mov_b32_e32 v0, 0
	s_mov_b32 s20, 0
	v_mov_b32_e32 v1, v0
                                        ; implicit-def: $vgpr4
	v_mov_b32_e32 v6, v14
	v_mov_b32_e32 v2, v0
	s_and_b32 s2, s69, 3
	s_cmp_eq_u32 s2, 0
	s_cbranch_scc1 .LBB4_95
.LBB4_93:
	s_mul_i32 s0, s20, 12
	s_add_u32 s0, s27, s0
	s_addc_u32 s1, s33, 0
	s_add_u32 s0, s0, 4
	s_addc_u32 s1, s1, 0
.LBB4_94:                               ; =>This Inner Loop Header: Depth=1
	s_load_dwordx2 s[36:37], s[0:1], 0x0
	s_load_dword s3, s[0:1], 0x8
	s_load_dwordx2 s[38:39], s[0:1], 0xc0
	s_load_dword s20, s[0:1], 0xc8
	v_mov_b32_e32 v4, v1
	s_waitcnt lgkmcnt(0)
	v_mul_hi_u32 v1, s37, v6
	v_add_u32_e32 v1, v6, v1
	v_lshrrev_b32_e32 v1, s3, v1
	v_mul_lo_u32 v3, v1, s36
	s_add_u32 s0, s0, 12
	v_sub_u32_e32 v7, v6, v3
	s_addc_u32 s1, s1, 0
	s_add_i32 s2, s2, -1
	v_mov_b32_e32 v6, v1
	v_mad_u64_u32 v[4:5], s[36:37], v7, s20, v[4:5]
	v_mad_u64_u32 v[0:1], s[36:37], v7, s39, v[0:1]
	s_cmp_lg_u32 s2, 0
	v_mad_u64_u32 v[2:3], s[36:37], v7, s38, v[2:3]
	v_mov_b32_e32 v1, v4
	s_cbranch_scc1 .LBB4_94
.LBB4_95:
	s_cbranch_execnz .LBB4_98
.LBB4_96:
	v_mul_hi_u32 v0, s22, v14
	v_add_u32_e32 v0, v14, v0
	v_lshrrev_b32_e32 v1, s23, v0
	v_mul_lo_u32 v0, v1, s21
	v_sub_u32_e32 v0, v14, v0
	v_mul_lo_u32 v2, v0, s28
	v_mul_lo_u32 v4, v0, s30
	s_andn2_b64 vcc, exec, s[60:61]
	v_mul_lo_u32 v0, v0, s29
	s_cbranch_vccnz .LBB4_98
; %bb.97:
	v_mul_hi_u32 v3, s25, v1
	v_add_u32_e32 v3, v1, v3
	v_lshrrev_b32_e32 v3, s26, v3
	v_mul_lo_u32 v3, v3, s24
	v_sub_u32_e32 v5, v1, v3
	v_mad_u64_u32 v[2:3], s[0:1], v5, s31, v[2:3]
	v_mad_u64_u32 v[0:1], s[0:1], v5, s34, v[0:1]
	;; [unrolled: 1-line block ×3, first 2 shown]
.LBB4_98:
	global_load_dwordx2 v[4:5], v4, s[8:9]
	v_mov_b64_e32 v[6:7], 0
	s_waitcnt vmcnt(0)
	v_cmp_lt_i64_e32 vcc, s[10:11], v[4:5]
	s_and_saveexec_b64 s[2:3], vcc
	s_cbranch_execz .LBB4_104
; %bb.99:
	v_mov_b32_e32 v1, s11
	v_subrev_co_u32_e32 v8, vcc, s10, v4
	v_mov_b32_e32 v10, 0
	s_nop 0
	v_subb_co_u32_e32 v9, vcc, v5, v1, vcc
	v_or_b32_e32 v11, s13, v9
	v_cmp_ne_u64_e32 vcc, 0, v[10:11]
                                        ; implicit-def: $vgpr6_vgpr7
	s_and_saveexec_b64 s[0:1], vcc
	s_xor_b64 s[8:9], exec, s[0:1]
	s_cbranch_execz .LBB4_101
; %bb.100:
	s_ashr_i32 s20, s13, 31
	s_add_u32 s0, s12, s20
	s_mov_b32 s21, s20
	s_addc_u32 s1, s13, s20
	s_xor_b64 s[22:23], s[0:1], s[20:21]
	v_cvt_f32_u32_e32 v1, s22
	v_cvt_f32_u32_e32 v3, s23
	s_sub_u32 s21, 0, s22
	s_subb_u32 s24, 0, s23
	v_ashrrev_i32_e32 v6, 31, v9
	v_fmamk_f32 v1, v3, 0x4f800000, v1
	v_rcp_f32_e32 v1, v1
	v_mov_b32_e32 v7, v6
	v_lshl_add_u64 v[8:9], v[8:9], 0, v[6:7]
	v_mov_b32_e32 v13, v10
	v_mul_f32_e32 v1, 0x5f7ffffc, v1
	v_mul_f32_e32 v3, 0x2f800000, v1
	v_trunc_f32_e32 v3, v3
	v_fmamk_f32 v1, v3, 0xcf800000, v1
	v_cvt_u32_f32_e32 v3, v3
	v_cvt_u32_f32_e32 v1, v1
	v_readfirstlane_b32 s25, v3
	v_readfirstlane_b32 s0, v1
	s_mul_i32 s1, s21, s25
	s_mul_hi_u32 s27, s21, s0
	s_mul_i32 s26, s24, s0
	s_add_i32 s1, s27, s1
	s_add_i32 s1, s1, s26
	s_mul_i32 s28, s21, s0
	s_mul_i32 s27, s0, s1
	s_mul_hi_u32 s29, s0, s28
	s_mul_hi_u32 s26, s0, s1
	s_add_u32 s27, s29, s27
	s_addc_u32 s26, 0, s26
	s_mul_hi_u32 s30, s25, s28
	s_mul_i32 s28, s25, s28
	s_add_u32 s27, s27, s28
	s_mul_hi_u32 s29, s25, s1
	s_addc_u32 s26, s26, s30
	s_addc_u32 s27, s29, 0
	s_mul_i32 s1, s25, s1
	s_add_u32 s1, s26, s1
	s_addc_u32 s26, 0, s27
	s_add_u32 s27, s0, s1
	s_cselect_b64 s[0:1], -1, 0
	s_cmp_lg_u64 s[0:1], 0
	s_addc_u32 s25, s25, s26
	s_mul_i32 s0, s21, s25
	s_mul_hi_u32 s1, s21, s27
	s_add_i32 s0, s1, s0
	s_mul_i32 s24, s24, s27
	s_add_i32 s0, s0, s24
	s_mul_i32 s21, s21, s27
	s_mul_hi_u32 s24, s25, s21
	s_mul_i32 s26, s25, s21
	s_mul_i32 s29, s27, s0
	s_mul_hi_u32 s21, s27, s21
	s_mul_hi_u32 s28, s27, s0
	s_add_u32 s21, s21, s29
	s_addc_u32 s28, 0, s28
	s_add_u32 s21, s21, s26
	s_mul_hi_u32 s1, s25, s0
	s_addc_u32 s21, s28, s24
	s_addc_u32 s1, s1, 0
	s_mul_i32 s0, s25, s0
	s_add_u32 s0, s21, s0
	s_addc_u32 s21, 0, s1
	s_add_u32 s24, s27, s0
	s_cselect_b64 s[0:1], -1, 0
	s_cmp_lg_u64 s[0:1], 0
	s_addc_u32 s21, s25, s21
	v_xor_b32_e32 v3, v8, v6
	v_xor_b32_e32 v1, v9, v6
	v_mad_u64_u32 v[8:9], s[0:1], v3, s21, 0
	v_mul_hi_u32 v12, v3, s24
	v_lshl_add_u64 v[8:9], v[12:13], 0, v[8:9]
	v_mad_u64_u32 v[14:15], s[0:1], v1, s24, 0
	v_add_co_u32_e32 v7, vcc, v8, v14
	v_mad_u64_u32 v[12:13], s[0:1], v1, s21, 0
	s_nop 0
	v_addc_co_u32_e32 v8, vcc, v9, v15, vcc
	v_mov_b32_e32 v9, v10
	s_nop 0
	v_addc_co_u32_e32 v13, vcc, 0, v13, vcc
	v_lshl_add_u64 v[8:9], v[8:9], 0, v[12:13]
	v_mul_lo_u32 v7, s23, v8
	v_mul_lo_u32 v12, s22, v9
	v_mad_u64_u32 v[10:11], s[0:1], s22, v8, 0
	v_add3_u32 v7, v11, v12, v7
	v_sub_u32_e32 v11, v1, v7
	v_mov_b32_e32 v12, s23
	v_sub_co_u32_e32 v3, vcc, v3, v10
	s_nop 1
	v_subb_co_u32_e64 v10, s[0:1], v11, v12, vcc
	v_subrev_co_u32_e64 v11, s[0:1], s22, v3
	v_subb_co_u32_e32 v1, vcc, v1, v7, vcc
	s_nop 0
	v_subbrev_co_u32_e64 v10, s[0:1], 0, v10, s[0:1]
	v_cmp_le_u32_e64 s[0:1], s23, v10
	v_cmp_le_u32_e32 vcc, s23, v1
	s_nop 0
	v_cndmask_b32_e64 v12, 0, -1, s[0:1]
	v_cmp_le_u32_e64 s[0:1], s22, v11
	v_cndmask_b32_e64 v7, 0, -1, vcc
	v_cmp_le_u32_e32 vcc, s22, v3
	v_cndmask_b32_e64 v11, 0, -1, s[0:1]
	v_cmp_eq_u32_e64 s[0:1], s23, v10
	v_cndmask_b32_e64 v3, 0, -1, vcc
	v_cmp_eq_u32_e32 vcc, s23, v1
	v_cndmask_b32_e64 v14, v12, v11, s[0:1]
	v_lshl_add_u64 v[10:11], v[8:9], 0, 2
	v_lshl_add_u64 v[12:13], v[8:9], 0, 1
	v_cmp_ne_u32_e64 s[0:1], 0, v14
	v_cndmask_b32_e32 v1, v7, v3, vcc
	v_cmp_ne_u32_e32 vcc, 0, v1
	v_cndmask_b32_e64 v3, v12, v10, s[0:1]
	v_cndmask_b32_e64 v11, v13, v11, s[0:1]
	v_cndmask_b32_e32 v3, v8, v3, vcc
	v_xor_b32_e32 v7, s20, v6
	v_cndmask_b32_e32 v1, v9, v11, vcc
	v_xor_b32_e32 v3, v3, v7
	v_xor_b32_e32 v1, v1, v7
	v_sub_co_u32_e32 v6, vcc, v3, v7
                                        ; implicit-def: $vgpr8
	s_nop 1
	v_subb_co_u32_e32 v7, vcc, v1, v7, vcc
.LBB4_101:
	s_andn2_saveexec_b64 s[0:1], s[8:9]
	s_cbranch_execz .LBB4_103
; %bb.102:
	v_cvt_f32_u32_e32 v1, s12
	s_sub_i32 s8, 0, s12
	v_rcp_iflag_f32_e32 v1, v1
	s_nop 0
	v_mul_f32_e32 v1, 0x4f7ffffe, v1
	v_cvt_u32_f32_e32 v1, v1
	v_mul_lo_u32 v3, s8, v1
	v_mul_hi_u32 v3, v1, v3
	v_add_u32_e32 v1, v1, v3
	v_mul_hi_u32 v1, v8, v1
	v_mul_lo_u32 v3, v1, s12
	v_sub_u32_e32 v3, v8, v3
	v_add_u32_e32 v6, 1, v1
	v_subrev_u32_e32 v7, s12, v3
	v_cmp_le_u32_e32 vcc, s12, v3
	s_nop 1
	v_cndmask_b32_e32 v3, v3, v7, vcc
	v_cndmask_b32_e32 v1, v1, v6, vcc
	v_add_u32_e32 v6, 1, v1
	v_cmp_le_u32_e32 vcc, s12, v3
	v_mov_b32_e32 v7, 0
	s_nop 0
	v_cndmask_b32_e32 v6, v1, v6, vcc
.LBB4_103:
	s_or_b64 exec, exec, s[0:1]
.LBB4_104:
	s_or_b64 exec, exec, s[2:3]
	v_or_b32_e32 v9, s13, v5
	v_mov_b32_e32 v8, 0
	v_cmp_ne_u64_e32 vcc, 0, v[8:9]
                                        ; implicit-def: $vgpr10_vgpr11
	s_and_saveexec_b64 s[0:1], vcc
	s_xor_b64 s[2:3], exec, s[0:1]
	s_cbranch_execz .LBB4_106
; %bb.105:
	s_ashr_i32 s8, s13, 31
	s_add_u32 s0, s12, s8
	s_mov_b32 s9, s8
	s_addc_u32 s1, s13, s8
	s_xor_b64 s[20:21], s[0:1], s[8:9]
	v_cvt_f32_u32_e32 v1, s20
	v_cvt_f32_u32_e32 v3, s21
	s_sub_u32 s9, 0, s20
	s_subb_u32 s22, 0, s21
	v_ashrrev_i32_e32 v10, 31, v5
	v_fmamk_f32 v1, v3, 0x4f800000, v1
	v_rcp_f32_e32 v1, v1
	v_mov_b32_e32 v11, v10
	v_lshl_add_u64 v[12:13], v[4:5], 0, v[10:11]
	v_mov_b32_e32 v15, v8
	v_mul_f32_e32 v1, 0x5f7ffffc, v1
	v_mul_f32_e32 v3, 0x2f800000, v1
	v_trunc_f32_e32 v3, v3
	v_fmamk_f32 v1, v3, 0xcf800000, v1
	v_cvt_u32_f32_e32 v3, v3
	v_cvt_u32_f32_e32 v1, v1
	v_readfirstlane_b32 s23, v3
	v_readfirstlane_b32 s0, v1
	s_mul_i32 s1, s9, s23
	s_mul_hi_u32 s25, s9, s0
	s_mul_i32 s24, s22, s0
	s_add_i32 s1, s25, s1
	s_add_i32 s1, s1, s24
	s_mul_i32 s26, s9, s0
	s_mul_i32 s25, s0, s1
	s_mul_hi_u32 s27, s0, s26
	s_mul_hi_u32 s24, s0, s1
	s_add_u32 s25, s27, s25
	s_addc_u32 s24, 0, s24
	s_mul_hi_u32 s28, s23, s26
	s_mul_i32 s26, s23, s26
	s_add_u32 s25, s25, s26
	s_mul_hi_u32 s27, s23, s1
	s_addc_u32 s24, s24, s28
	s_addc_u32 s25, s27, 0
	s_mul_i32 s1, s23, s1
	s_add_u32 s1, s24, s1
	s_addc_u32 s24, 0, s25
	s_add_u32 s25, s0, s1
	s_cselect_b64 s[0:1], -1, 0
	s_cmp_lg_u64 s[0:1], 0
	s_addc_u32 s23, s23, s24
	s_mul_i32 s0, s9, s23
	s_mul_hi_u32 s1, s9, s25
	s_add_i32 s0, s1, s0
	s_mul_i32 s22, s22, s25
	s_add_i32 s0, s0, s22
	s_mul_i32 s9, s9, s25
	s_mul_hi_u32 s22, s23, s9
	s_mul_i32 s24, s23, s9
	s_mul_i32 s27, s25, s0
	s_mul_hi_u32 s9, s25, s9
	s_mul_hi_u32 s26, s25, s0
	s_add_u32 s9, s9, s27
	s_addc_u32 s26, 0, s26
	s_add_u32 s9, s9, s24
	s_mul_hi_u32 s1, s23, s0
	s_addc_u32 s9, s26, s22
	s_addc_u32 s1, s1, 0
	s_mul_i32 s0, s23, s0
	s_add_u32 s0, s9, s0
	s_addc_u32 s9, 0, s1
	s_add_u32 s22, s25, s0
	s_cselect_b64 s[0:1], -1, 0
	s_cmp_lg_u64 s[0:1], 0
	s_addc_u32 s9, s23, s9
	v_xor_b32_e32 v3, v12, v10
	v_xor_b32_e32 v1, v13, v10
	v_mad_u64_u32 v[12:13], s[0:1], v3, s9, 0
	v_mul_hi_u32 v14, v3, s22
	v_lshl_add_u64 v[12:13], v[14:15], 0, v[12:13]
	v_mad_u64_u32 v[16:17], s[0:1], v1, s22, 0
	v_add_co_u32_e32 v9, vcc, v12, v16
	v_mad_u64_u32 v[14:15], s[0:1], v1, s9, 0
	s_nop 0
	v_addc_co_u32_e32 v12, vcc, v13, v17, vcc
	v_mov_b32_e32 v13, v8
	s_nop 0
	v_addc_co_u32_e32 v15, vcc, 0, v15, vcc
	v_lshl_add_u64 v[8:9], v[12:13], 0, v[14:15]
	v_mul_lo_u32 v11, s21, v8
	v_mul_lo_u32 v14, s20, v9
	v_mad_u64_u32 v[12:13], s[0:1], s20, v8, 0
	v_add3_u32 v11, v13, v14, v11
	v_sub_u32_e32 v13, v1, v11
	v_mov_b32_e32 v14, s21
	v_sub_co_u32_e32 v3, vcc, v3, v12
	s_nop 1
	v_subb_co_u32_e64 v12, s[0:1], v13, v14, vcc
	v_subrev_co_u32_e64 v13, s[0:1], s20, v3
	v_subb_co_u32_e32 v1, vcc, v1, v11, vcc
	s_nop 0
	v_subbrev_co_u32_e64 v12, s[0:1], 0, v12, s[0:1]
	v_cmp_le_u32_e64 s[0:1], s21, v12
	v_cmp_le_u32_e32 vcc, s21, v1
	s_nop 0
	v_cndmask_b32_e64 v14, 0, -1, s[0:1]
	v_cmp_le_u32_e64 s[0:1], s20, v13
	v_cndmask_b32_e64 v11, 0, -1, vcc
	v_cmp_le_u32_e32 vcc, s20, v3
	v_cndmask_b32_e64 v13, 0, -1, s[0:1]
	v_cmp_eq_u32_e64 s[0:1], s21, v12
	v_cndmask_b32_e64 v3, 0, -1, vcc
	v_cmp_eq_u32_e32 vcc, s21, v1
	v_cndmask_b32_e64 v16, v14, v13, s[0:1]
	v_lshl_add_u64 v[12:13], v[8:9], 0, 2
	v_lshl_add_u64 v[14:15], v[8:9], 0, 1
	v_cmp_ne_u32_e64 s[0:1], 0, v16
	v_cndmask_b32_e32 v1, v11, v3, vcc
	v_cmp_ne_u32_e32 vcc, 0, v1
	v_cndmask_b32_e64 v3, v14, v12, s[0:1]
	v_cndmask_b32_e64 v13, v15, v13, s[0:1]
	v_cndmask_b32_e32 v3, v8, v3, vcc
	v_xor_b32_e32 v8, s8, v10
	v_cndmask_b32_e32 v1, v9, v13, vcc
	v_xor_b32_e32 v3, v3, v8
	v_xor_b32_e32 v1, v1, v8
	v_sub_co_u32_e32 v10, vcc, v3, v8
	s_nop 1
	v_subb_co_u32_e32 v11, vcc, v1, v8, vcc
.LBB4_106:
	s_andn2_saveexec_b64 s[0:1], s[2:3]
	s_cbranch_execz .LBB4_108
; %bb.107:
	v_cvt_f32_u32_e32 v1, s12
	s_sub_i32 s2, 0, s12
	v_mov_b32_e32 v11, 0
	v_rcp_iflag_f32_e32 v1, v1
	s_nop 0
	v_mul_f32_e32 v1, 0x4f7ffffe, v1
	v_cvt_u32_f32_e32 v1, v1
	v_mul_lo_u32 v3, s2, v1
	v_mul_hi_u32 v3, v1, v3
	v_add_u32_e32 v1, v1, v3
	v_mul_hi_u32 v1, v4, v1
	v_mul_lo_u32 v3, v1, s12
	v_sub_u32_e32 v3, v4, v3
	v_add_u32_e32 v8, 1, v1
	v_subrev_u32_e32 v9, s12, v3
	v_cmp_le_u32_e32 vcc, s12, v3
	s_nop 1
	v_cndmask_b32_e32 v3, v3, v9, vcc
	v_cndmask_b32_e32 v1, v1, v8, vcc
	v_add_u32_e32 v8, 1, v1
	v_cmp_le_u32_e32 vcc, s12, v3
	s_nop 1
	v_cndmask_b32_e32 v10, v1, v8, vcc
.LBB4_108:
	s_or_b64 exec, exec, s[0:1]
	v_mul_lo_u32 v1, v7, s12
	v_mul_lo_u32 v3, v6, s13
	v_mad_u64_u32 v[8:9], s[0:1], v6, s12, 0
	v_add3_u32 v9, v9, v3, v1
	v_cmp_gt_i64_e32 vcc, v[8:9], v[4:5]
	v_mov_b64_e32 v[8:9], s[10:11]
	v_mad_u64_u32 v[8:9], s[0:1], v6, s12, v[8:9]
	v_add3_u32 v9, v1, v9, v3
	v_cmp_ge_i64_e64 s[0:1], v[4:5], v[8:9]
	s_or_b64 s[0:1], vcc, s[0:1]
	v_mov_b32_e32 v1, s15
	v_cndmask_b32_e64 v8, 0, 1, s[0:1]
	s_mov_b32 s0, 0
	v_mov_b32_e32 v9, s0
	v_cmp_gt_i64_e32 vcc, s[14:15], v[10:11]
	v_lshl_add_u64 v[12:13], v[6:7], 0, v[8:9]
	s_nop 0
	v_cndmask_b32_e32 v7, v1, v11, vcc
	v_mov_b32_e32 v1, s14
	v_cndmask_b32_e32 v6, v1, v10, vcc
	v_cmp_le_i64_e32 vcc, v[12:13], v[6:7]
	s_and_b64 exec, exec, vcc
	s_cbranch_execz .LBB4_111
; %bb.109:
	global_load_ushort v10, v2, s[4:5]
	v_mul_lo_u32 v11, s13, v12
	v_mul_lo_u32 v16, s12, v13
	v_mad_u64_u32 v[14:15], s[0:1], s12, v12, 0
	v_add3_u32 v11, v15, v16, v11
	v_sub_co_u32_e32 v4, vcc, v4, v14
	v_mov_b32_e32 v3, 0
	s_nop 0
	v_subb_co_u32_e32 v5, vcc, v5, v11, vcc
	v_mul_lo_u32 v11, s19, v4
	v_mul_lo_u32 v14, s18, v5
	v_mad_u64_u32 v[4:5], s[0:1], s18, v4, 0
	v_lshl_add_u64 v[8:9], s[4:5], 0, v[2:3]
	v_mov_b32_e32 v1, v3
	v_lshl_add_u64 v[2:3], v[12:13], 0, -1
	v_add3_u32 v5, v5, v14, v11
	v_mul_lo_u32 v11, s17, v12
	v_mul_lo_u32 v14, s16, v13
	v_mad_u64_u32 v[12:13], s[0:1], s16, v12, 0
	s_mul_i32 s2, s12, s19
	s_mul_hi_u32 s3, s12, s18
	v_add3_u32 v13, v13, v14, v11
	s_add_i32 s2, s3, s2
	s_mul_i32 s3, s13, s18
	v_lshlrev_b64 v[12:13], 1, v[12:13]
	s_add_i32 s3, s2, s3
	s_mul_i32 s2, s12, s18
	v_lshl_add_u64 v[4:5], v[4:5], 1, v[12:13]
	s_lshl_b64 s[0:1], s[16:17], 1
	s_lshl_b64 s[2:3], s[2:3], 1
	v_lshl_add_u64 v[0:1], v[4:5], 0, v[0:1]
	s_sub_u32 s0, s0, s2
	v_lshl_add_u64 v[0:1], s[6:7], 0, v[0:1]
	s_subb_u32 s1, s1, s3
	s_mov_b64 s[2:3], 0
.LBB4_110:                              ; =>This Inner Loop Header: Depth=1
	global_load_ushort v4, v[0:1], off
	v_lshl_add_u64 v[2:3], v[2:3], 0, 1
	v_cmp_ge_i64_e32 vcc, v[2:3], v[6:7]
	v_lshl_add_u64 v[0:1], v[0:1], 0, s[0:1]
	s_or_b64 s[2:3], vcc, s[2:3]
	s_waitcnt vmcnt(0)
	v_add_u16_e32 v10, v4, v10
	global_store_short v[8:9], v10, off
	s_andn2_b64 exec, exec, s[2:3]
	s_cbranch_execnz .LBB4_110
.LBB4_111:
	s_endpgm
	.section	.rodata,"a",@progbits
	.p2align	6, 0x0
	.amdhsa_kernel _ZN2at6native12_GLOBAL__N_135_unfold_backward_elementwise_kernelILi256ELi4EZNS1_32_unfold_backward_internal_kernelIsEEvRNS_14TensorIteratorEllllllEUliE_EEviT1_
		.amdhsa_group_segment_fixed_size 0
		.amdhsa_private_segment_fixed_size 0
		.amdhsa_kernarg_size 464
		.amdhsa_user_sgpr_count 2
		.amdhsa_user_sgpr_dispatch_ptr 0
		.amdhsa_user_sgpr_queue_ptr 0
		.amdhsa_user_sgpr_kernarg_segment_ptr 1
		.amdhsa_user_sgpr_dispatch_id 0
		.amdhsa_user_sgpr_kernarg_preload_length 0
		.amdhsa_user_sgpr_kernarg_preload_offset 0
		.amdhsa_user_sgpr_private_segment_size 0
		.amdhsa_uses_dynamic_stack 0
		.amdhsa_enable_private_segment 0
		.amdhsa_system_sgpr_workgroup_id_x 1
		.amdhsa_system_sgpr_workgroup_id_y 0
		.amdhsa_system_sgpr_workgroup_id_z 0
		.amdhsa_system_sgpr_workgroup_info 0
		.amdhsa_system_vgpr_workitem_id 0
		.amdhsa_next_free_vgpr 20
		.amdhsa_next_free_sgpr 73
		.amdhsa_accum_offset 20
		.amdhsa_reserve_vcc 1
		.amdhsa_float_round_mode_32 0
		.amdhsa_float_round_mode_16_64 0
		.amdhsa_float_denorm_mode_32 3
		.amdhsa_float_denorm_mode_16_64 3
		.amdhsa_dx10_clamp 1
		.amdhsa_ieee_mode 1
		.amdhsa_fp16_overflow 0
		.amdhsa_tg_split 0
		.amdhsa_exception_fp_ieee_invalid_op 0
		.amdhsa_exception_fp_denorm_src 0
		.amdhsa_exception_fp_ieee_div_zero 0
		.amdhsa_exception_fp_ieee_overflow 0
		.amdhsa_exception_fp_ieee_underflow 0
		.amdhsa_exception_fp_ieee_inexact 0
		.amdhsa_exception_int_div_zero 0
	.end_amdhsa_kernel
	.section	.text._ZN2at6native12_GLOBAL__N_135_unfold_backward_elementwise_kernelILi256ELi4EZNS1_32_unfold_backward_internal_kernelIsEEvRNS_14TensorIteratorEllllllEUliE_EEviT1_,"axG",@progbits,_ZN2at6native12_GLOBAL__N_135_unfold_backward_elementwise_kernelILi256ELi4EZNS1_32_unfold_backward_internal_kernelIsEEvRNS_14TensorIteratorEllllllEUliE_EEviT1_,comdat
.Lfunc_end4:
	.size	_ZN2at6native12_GLOBAL__N_135_unfold_backward_elementwise_kernelILi256ELi4EZNS1_32_unfold_backward_internal_kernelIsEEvRNS_14TensorIteratorEllllllEUliE_EEviT1_, .Lfunc_end4-_ZN2at6native12_GLOBAL__N_135_unfold_backward_elementwise_kernelILi256ELi4EZNS1_32_unfold_backward_internal_kernelIsEEvRNS_14TensorIteratorEllllllEUliE_EEviT1_
                                        ; -- End function
	.set _ZN2at6native12_GLOBAL__N_135_unfold_backward_elementwise_kernelILi256ELi4EZNS1_32_unfold_backward_internal_kernelIsEEvRNS_14TensorIteratorEllllllEUliE_EEviT1_.num_vgpr, 20
	.set _ZN2at6native12_GLOBAL__N_135_unfold_backward_elementwise_kernelILi256ELi4EZNS1_32_unfold_backward_internal_kernelIsEEvRNS_14TensorIteratorEllllllEUliE_EEviT1_.num_agpr, 0
	.set _ZN2at6native12_GLOBAL__N_135_unfold_backward_elementwise_kernelILi256ELi4EZNS1_32_unfold_backward_internal_kernelIsEEvRNS_14TensorIteratorEllllllEUliE_EEviT1_.numbered_sgpr, 73
	.set _ZN2at6native12_GLOBAL__N_135_unfold_backward_elementwise_kernelILi256ELi4EZNS1_32_unfold_backward_internal_kernelIsEEvRNS_14TensorIteratorEllllllEUliE_EEviT1_.num_named_barrier, 0
	.set _ZN2at6native12_GLOBAL__N_135_unfold_backward_elementwise_kernelILi256ELi4EZNS1_32_unfold_backward_internal_kernelIsEEvRNS_14TensorIteratorEllllllEUliE_EEviT1_.private_seg_size, 0
	.set _ZN2at6native12_GLOBAL__N_135_unfold_backward_elementwise_kernelILi256ELi4EZNS1_32_unfold_backward_internal_kernelIsEEvRNS_14TensorIteratorEllllllEUliE_EEviT1_.uses_vcc, 1
	.set _ZN2at6native12_GLOBAL__N_135_unfold_backward_elementwise_kernelILi256ELi4EZNS1_32_unfold_backward_internal_kernelIsEEvRNS_14TensorIteratorEllllllEUliE_EEviT1_.uses_flat_scratch, 0
	.set _ZN2at6native12_GLOBAL__N_135_unfold_backward_elementwise_kernelILi256ELi4EZNS1_32_unfold_backward_internal_kernelIsEEvRNS_14TensorIteratorEllllllEUliE_EEviT1_.has_dyn_sized_stack, 0
	.set _ZN2at6native12_GLOBAL__N_135_unfold_backward_elementwise_kernelILi256ELi4EZNS1_32_unfold_backward_internal_kernelIsEEvRNS_14TensorIteratorEllllllEUliE_EEviT1_.has_recursion, 0
	.set _ZN2at6native12_GLOBAL__N_135_unfold_backward_elementwise_kernelILi256ELi4EZNS1_32_unfold_backward_internal_kernelIsEEvRNS_14TensorIteratorEllllllEUliE_EEviT1_.has_indirect_call, 0
	.section	.AMDGPU.csdata,"",@progbits
; Kernel info:
; codeLenInByte = 11028
; TotalNumSgprs: 79
; NumVgprs: 20
; NumAgprs: 0
; TotalNumVgprs: 20
; ScratchSize: 0
; MemoryBound: 0
; FloatMode: 240
; IeeeMode: 1
; LDSByteSize: 0 bytes/workgroup (compile time only)
; SGPRBlocks: 9
; VGPRBlocks: 2
; NumSGPRsForWavesPerEU: 79
; NumVGPRsForWavesPerEU: 20
; AccumOffset: 20
; Occupancy: 8
; WaveLimiterHint : 1
; COMPUTE_PGM_RSRC2:SCRATCH_EN: 0
; COMPUTE_PGM_RSRC2:USER_SGPR: 2
; COMPUTE_PGM_RSRC2:TRAP_HANDLER: 0
; COMPUTE_PGM_RSRC2:TGID_X_EN: 1
; COMPUTE_PGM_RSRC2:TGID_Y_EN: 0
; COMPUTE_PGM_RSRC2:TGID_Z_EN: 0
; COMPUTE_PGM_RSRC2:TIDIG_COMP_CNT: 0
; COMPUTE_PGM_RSRC3_GFX90A:ACCUM_OFFSET: 4
; COMPUTE_PGM_RSRC3_GFX90A:TG_SPLIT: 0
	.section	.text._ZN2at6native12_GLOBAL__N_135_unfold_backward_elementwise_kernelILi256ELi4EZNS1_32_unfold_backward_internal_kernelIdEEvRNS_14TensorIteratorEllllllEUliE_EEviT1_,"axG",@progbits,_ZN2at6native12_GLOBAL__N_135_unfold_backward_elementwise_kernelILi256ELi4EZNS1_32_unfold_backward_internal_kernelIdEEvRNS_14TensorIteratorEllllllEUliE_EEviT1_,comdat
	.globl	_ZN2at6native12_GLOBAL__N_135_unfold_backward_elementwise_kernelILi256ELi4EZNS1_32_unfold_backward_internal_kernelIdEEvRNS_14TensorIteratorEllllllEUliE_EEviT1_ ; -- Begin function _ZN2at6native12_GLOBAL__N_135_unfold_backward_elementwise_kernelILi256ELi4EZNS1_32_unfold_backward_internal_kernelIdEEvRNS_14TensorIteratorEllllllEUliE_EEviT1_
	.p2align	8
	.type	_ZN2at6native12_GLOBAL__N_135_unfold_backward_elementwise_kernelILi256ELi4EZNS1_32_unfold_backward_internal_kernelIdEEvRNS_14TensorIteratorEllllllEUliE_EEviT1_,@function
_ZN2at6native12_GLOBAL__N_135_unfold_backward_elementwise_kernelILi256ELi4EZNS1_32_unfold_backward_internal_kernelIdEEvRNS_14TensorIteratorEllllllEUliE_EEviT1_: ; @_ZN2at6native12_GLOBAL__N_135_unfold_backward_elementwise_kernelILi256ELi4EZNS1_32_unfold_backward_internal_kernelIdEEvRNS_14TensorIteratorEllllllEUliE_EEviT1_
; %bb.0:
	s_load_dword s70, s[0:1], 0x0
	s_load_dwordx8 s[20:27], s[0:1], 0x8
	v_lshl_or_b32 v14, s2, 10, v0
	s_waitcnt lgkmcnt(0)
	s_add_u32 s27, s0, 8
	s_load_dwordx16 s[4:19], s[0:1], 0x190
	s_load_dwordx4 s[28:31], s[0:1], 0xcc
	s_load_dwordx2 s[34:35], s[0:1], 0xdc
	s_addc_u32 s33, s1, 0
	v_sub_co_u32_e64 v0, s[2:3], s20, 1
	s_nop 0
	v_readfirstlane_b32 s68, v0
	s_xor_b64 s[64:65], s[2:3], -1
	s_or_b32 s62, s0, 12
	s_min_u32 s69, s68, 15
	s_mov_b32 s63, s1
	s_cmp_gt_u32 s20, 1
	v_cmp_lt_u32_e64 s[0:1], 1, v0
	s_cselect_b64 s[60:61], -1, 0
	s_waitcnt lgkmcnt(0)
	s_add_u32 s14, s14, -1
	v_cndmask_b32_e64 v0, 0, 1, s[0:1]
	s_mov_b64 s[2:3], -1
	s_addc_u32 s15, s15, -1
	v_cmp_gt_i32_e32 vcc, s70, v14
	v_cmp_ne_u32_e64 s[0:1], 1, v0
	s_and_saveexec_b64 s[66:67], vcc
	s_cbranch_execnz .LBB5_4
; %bb.1:
	s_or_b64 exec, exec, s[66:67]
	v_cmp_gt_i32_e32 vcc, s70, v14
	s_and_saveexec_b64 s[66:67], vcc
	s_cbranch_execnz .LBB5_31
.LBB5_2:
	s_or_b64 exec, exec, s[66:67]
	v_cmp_gt_i32_e32 vcc, s70, v14
	s_and_saveexec_b64 s[66:67], vcc
	s_cbranch_execnz .LBB5_58
.LBB5_3:
	s_or_b64 exec, exec, s[66:67]
	v_cmp_gt_i32_e32 vcc, s70, v14
	s_and_saveexec_b64 s[2:3], vcc
	s_cbranch_execnz .LBB5_85
	s_branch .LBB5_111
.LBB5_4:
	s_and_b64 vcc, exec, s[0:1]
                                        ; implicit-def: $vgpr4
                                        ; implicit-def: $vgpr0
                                        ; implicit-def: $vgpr2
	s_cbranch_vccnz .LBB5_14
; %bb.5:
	v_mov_b32_e32 v4, 0
	s_andn2_b64 vcc, exec, s[64:65]
	v_mov_b32_e32 v0, 0
	v_mov_b32_e32 v2, 0
	s_cbranch_vccnz .LBB5_13
; %bb.6:
	s_add_i32 s71, s69, 1
	s_cmp_eq_u32 s68, 2
	s_cbranch_scc1 .LBB5_10
; %bb.7:
	s_and_b32 s20, s71, 28
	v_mov_b32_e32 v2, 0
	s_mov_b32 s72, 0
	s_mov_b64 s[2:3], s[62:63]
	v_mov_b32_e32 v6, v14
	v_mov_b32_e32 v0, 0
	;; [unrolled: 1-line block ×3, first 2 shown]
.LBB5_8:                                ; =>This Inner Loop Header: Depth=1
	s_load_dwordx8 s[36:43], s[2:3], 0x0
	s_load_dwordx4 s[52:55], s[2:3], 0x20
	s_load_dwordx4 s[56:59], s[2:3], 0xe0
	s_load_dwordx8 s[44:51], s[2:3], 0xc0
	s_add_i32 s72, s72, 4
	s_waitcnt lgkmcnt(0)
	v_mul_hi_u32 v1, s37, v6
	v_add_u32_e32 v1, v6, v1
	v_lshrrev_b32_e32 v1, s38, v1
	v_mul_hi_u32 v5, s40, v1
	v_add_u32_e32 v5, v1, v5
	v_lshrrev_b32_e32 v5, s41, v5
	v_mul_lo_u32 v3, v1, s36
	v_mul_lo_u32 v8, v5, s39
	v_mul_hi_u32 v9, s43, v5
	v_sub_u32_e32 v3, v6, v3
	v_sub_u32_e32 v1, v1, v8
	v_add_u32_e32 v8, v5, v9
	v_mul_lo_u32 v6, v3, s44
	v_mul_lo_u32 v7, v3, s46
	;; [unrolled: 1-line block ×6, first 2 shown]
	v_lshrrev_b32_e32 v8, s52, v8
	v_add3_u32 v0, v3, v0, v1
	v_add3_u32 v1, v7, v4, v10
	v_mul_hi_u32 v4, s54, v8
	v_add_u32_e32 v4, v8, v4
	v_add3_u32 v2, v6, v2, v9
	v_lshrrev_b32_e32 v6, s55, v4
	v_mul_lo_u32 v3, v8, s42
	v_mul_lo_u32 v4, v6, s53
	s_add_u32 s2, s2, 48
	v_sub_u32_e32 v3, v5, v3
	v_sub_u32_e32 v4, v8, v4
	s_addc_u32 s3, s3, 0
	v_mul_lo_u32 v5, v3, s50
	v_mul_lo_u32 v7, v3, s51
	;; [unrolled: 1-line block ×6, first 2 shown]
	s_cmp_lg_u32 s20, s72
	v_add3_u32 v2, v5, v2, v8
	v_add3_u32 v4, v3, v1, v4
	;; [unrolled: 1-line block ×3, first 2 shown]
	s_cbranch_scc1 .LBB5_8
; %bb.9:
	v_mov_b32_e32 v1, v4
	s_and_b32 s36, s71, 3
	s_cmp_eq_u32 s36, 0
	s_cbranch_scc0 .LBB5_11
	s_branch .LBB5_13
.LBB5_10:
	v_mov_b32_e32 v0, 0
	s_mov_b32 s20, 0
	v_mov_b32_e32 v1, v0
                                        ; implicit-def: $vgpr4
	v_mov_b32_e32 v6, v14
	v_mov_b32_e32 v2, v0
	s_and_b32 s36, s71, 3
	s_cmp_eq_u32 s36, 0
	s_cbranch_scc1 .LBB5_13
.LBB5_11:
	s_mul_i32 s2, s20, 12
	s_add_u32 s2, s27, s2
	s_addc_u32 s3, s33, 0
	s_add_u32 s2, s2, 4
	s_addc_u32 s3, s3, 0
.LBB5_12:                               ; =>This Inner Loop Header: Depth=1
	s_load_dwordx2 s[38:39], s[2:3], 0x0
	s_load_dword s20, s[2:3], 0x8
	s_load_dwordx2 s[40:41], s[2:3], 0xc0
	s_load_dword s37, s[2:3], 0xc8
	v_mov_b32_e32 v4, v1
	s_waitcnt lgkmcnt(0)
	v_mul_hi_u32 v1, s39, v6
	v_add_u32_e32 v1, v6, v1
	v_lshrrev_b32_e32 v1, s20, v1
	v_mul_lo_u32 v3, v1, s38
	s_add_u32 s2, s2, 12
	v_sub_u32_e32 v7, v6, v3
	s_addc_u32 s3, s3, 0
	s_add_i32 s36, s36, -1
	v_mov_b32_e32 v6, v1
	v_mad_u64_u32 v[4:5], s[38:39], v7, s37, v[4:5]
	v_mad_u64_u32 v[0:1], s[38:39], v7, s41, v[0:1]
	s_cmp_lg_u32 s36, 0
	v_mad_u64_u32 v[2:3], s[38:39], v7, s40, v[2:3]
	v_mov_b32_e32 v1, v4
	s_cbranch_scc1 .LBB5_12
.LBB5_13:
	s_mov_b64 s[2:3], 0
.LBB5_14:
	s_andn2_b64 vcc, exec, s[2:3]
	s_cbranch_vccnz .LBB5_17
; %bb.15:
	v_mul_hi_u32 v0, s22, v14
	v_add_u32_e32 v0, v14, v0
	v_lshrrev_b32_e32 v1, s23, v0
	v_mul_lo_u32 v0, v1, s21
	v_sub_u32_e32 v0, v14, v0
	v_mul_lo_u32 v2, v0, s28
	v_mul_lo_u32 v4, v0, s30
	s_andn2_b64 vcc, exec, s[60:61]
	v_mul_lo_u32 v0, v0, s29
	s_cbranch_vccnz .LBB5_17
; %bb.16:
	v_mul_hi_u32 v3, s25, v1
	v_add_u32_e32 v3, v1, v3
	v_lshrrev_b32_e32 v3, s26, v3
	v_mul_lo_u32 v3, v3, s24
	v_sub_u32_e32 v5, v1, v3
	v_mad_u64_u32 v[2:3], s[2:3], v5, s31, v[2:3]
	v_mad_u64_u32 v[0:1], s[2:3], v5, s34, v[0:1]
	;; [unrolled: 1-line block ×3, first 2 shown]
.LBB5_17:
	global_load_dwordx2 v[4:5], v4, s[8:9]
	v_mov_b64_e32 v[6:7], 0
	s_waitcnt vmcnt(0)
	v_cmp_lt_i64_e32 vcc, s[10:11], v[4:5]
	s_and_saveexec_b64 s[36:37], vcc
	s_cbranch_execz .LBB5_23
; %bb.18:
	v_mov_b32_e32 v1, s11
	v_subrev_co_u32_e32 v8, vcc, s10, v4
	v_mov_b32_e32 v10, 0
	s_nop 0
	v_subb_co_u32_e32 v9, vcc, v5, v1, vcc
	v_or_b32_e32 v11, s13, v9
	v_cmp_ne_u64_e32 vcc, 0, v[10:11]
                                        ; implicit-def: $vgpr6_vgpr7
	s_and_saveexec_b64 s[2:3], vcc
	s_xor_b64 s[38:39], exec, s[2:3]
	s_cbranch_execz .LBB5_20
; %bb.19:
	s_ashr_i32 s40, s13, 31
	s_add_u32 s2, s12, s40
	s_mov_b32 s41, s40
	s_addc_u32 s3, s13, s40
	s_xor_b64 s[42:43], s[2:3], s[40:41]
	v_cvt_f32_u32_e32 v1, s42
	v_cvt_f32_u32_e32 v3, s43
	s_sub_u32 s20, 0, s42
	s_subb_u32 s41, 0, s43
	v_ashrrev_i32_e32 v6, 31, v9
	v_fmamk_f32 v1, v3, 0x4f800000, v1
	v_rcp_f32_e32 v1, v1
	v_mov_b32_e32 v7, v6
	v_lshl_add_u64 v[8:9], v[8:9], 0, v[6:7]
	v_mov_b32_e32 v13, v10
	v_mul_f32_e32 v1, 0x5f7ffffc, v1
	v_mul_f32_e32 v3, 0x2f800000, v1
	v_trunc_f32_e32 v3, v3
	v_fmamk_f32 v1, v3, 0xcf800000, v1
	v_cvt_u32_f32_e32 v3, v3
	v_cvt_u32_f32_e32 v1, v1
	v_readfirstlane_b32 s44, v3
	v_readfirstlane_b32 s2, v1
	s_mul_i32 s3, s20, s44
	s_mul_hi_u32 s46, s20, s2
	s_mul_i32 s45, s41, s2
	s_add_i32 s3, s46, s3
	s_add_i32 s3, s3, s45
	s_mul_i32 s47, s20, s2
	s_mul_i32 s46, s2, s3
	s_mul_hi_u32 s48, s2, s47
	s_mul_hi_u32 s45, s2, s3
	s_add_u32 s46, s48, s46
	s_addc_u32 s45, 0, s45
	s_mul_hi_u32 s49, s44, s47
	s_mul_i32 s47, s44, s47
	s_add_u32 s46, s46, s47
	s_mul_hi_u32 s48, s44, s3
	s_addc_u32 s45, s45, s49
	s_addc_u32 s46, s48, 0
	s_mul_i32 s3, s44, s3
	s_add_u32 s3, s45, s3
	s_addc_u32 s45, 0, s46
	s_add_u32 s46, s2, s3
	s_cselect_b64 s[2:3], -1, 0
	s_cmp_lg_u64 s[2:3], 0
	s_addc_u32 s44, s44, s45
	s_mul_i32 s2, s20, s44
	s_mul_hi_u32 s3, s20, s46
	s_add_i32 s2, s3, s2
	s_mul_i32 s41, s41, s46
	s_add_i32 s2, s2, s41
	s_mul_i32 s20, s20, s46
	s_mul_hi_u32 s41, s44, s20
	s_mul_i32 s45, s44, s20
	s_mul_i32 s48, s46, s2
	s_mul_hi_u32 s20, s46, s20
	s_mul_hi_u32 s47, s46, s2
	s_add_u32 s20, s20, s48
	s_addc_u32 s47, 0, s47
	s_add_u32 s20, s20, s45
	s_mul_hi_u32 s3, s44, s2
	s_addc_u32 s20, s47, s41
	s_addc_u32 s3, s3, 0
	s_mul_i32 s2, s44, s2
	s_add_u32 s2, s20, s2
	s_addc_u32 s20, 0, s3
	s_add_u32 s41, s46, s2
	s_cselect_b64 s[2:3], -1, 0
	s_cmp_lg_u64 s[2:3], 0
	s_addc_u32 s20, s44, s20
	v_xor_b32_e32 v3, v8, v6
	v_xor_b32_e32 v1, v9, v6
	v_mad_u64_u32 v[8:9], s[2:3], v3, s20, 0
	v_mul_hi_u32 v12, v3, s41
	v_lshl_add_u64 v[8:9], v[12:13], 0, v[8:9]
	v_mad_u64_u32 v[16:17], s[2:3], v1, s41, 0
	v_add_co_u32_e32 v7, vcc, v8, v16
	v_mad_u64_u32 v[12:13], s[2:3], v1, s20, 0
	s_nop 0
	v_addc_co_u32_e32 v8, vcc, v9, v17, vcc
	v_mov_b32_e32 v9, v10
	s_nop 0
	v_addc_co_u32_e32 v13, vcc, 0, v13, vcc
	v_lshl_add_u64 v[8:9], v[8:9], 0, v[12:13]
	v_mul_lo_u32 v7, s43, v8
	v_mul_lo_u32 v12, s42, v9
	v_mad_u64_u32 v[10:11], s[2:3], s42, v8, 0
	v_add3_u32 v7, v11, v12, v7
	v_sub_u32_e32 v11, v1, v7
	v_mov_b32_e32 v12, s43
	v_sub_co_u32_e32 v3, vcc, v3, v10
	s_nop 1
	v_subb_co_u32_e64 v10, s[2:3], v11, v12, vcc
	v_subrev_co_u32_e64 v11, s[2:3], s42, v3
	v_subb_co_u32_e32 v1, vcc, v1, v7, vcc
	s_nop 0
	v_subbrev_co_u32_e64 v10, s[2:3], 0, v10, s[2:3]
	v_cmp_le_u32_e64 s[2:3], s43, v10
	v_cmp_le_u32_e32 vcc, s43, v1
	s_nop 0
	v_cndmask_b32_e64 v12, 0, -1, s[2:3]
	v_cmp_le_u32_e64 s[2:3], s42, v11
	v_cndmask_b32_e64 v7, 0, -1, vcc
	v_cmp_le_u32_e32 vcc, s42, v3
	v_cndmask_b32_e64 v11, 0, -1, s[2:3]
	v_cmp_eq_u32_e64 s[2:3], s43, v10
	v_cndmask_b32_e64 v3, 0, -1, vcc
	v_cmp_eq_u32_e32 vcc, s43, v1
	v_cndmask_b32_e64 v15, v12, v11, s[2:3]
	v_lshl_add_u64 v[10:11], v[8:9], 0, 2
	v_lshl_add_u64 v[12:13], v[8:9], 0, 1
	v_cmp_ne_u32_e64 s[2:3], 0, v15
	v_cndmask_b32_e32 v1, v7, v3, vcc
	v_cmp_ne_u32_e32 vcc, 0, v1
	v_cndmask_b32_e64 v3, v12, v10, s[2:3]
	v_cndmask_b32_e64 v11, v13, v11, s[2:3]
	v_cndmask_b32_e32 v3, v8, v3, vcc
	v_xor_b32_e32 v7, s40, v6
	v_cndmask_b32_e32 v1, v9, v11, vcc
	v_xor_b32_e32 v3, v3, v7
	v_xor_b32_e32 v1, v1, v7
	v_sub_co_u32_e32 v6, vcc, v3, v7
                                        ; implicit-def: $vgpr8
	s_nop 1
	v_subb_co_u32_e32 v7, vcc, v1, v7, vcc
.LBB5_20:
	s_andn2_saveexec_b64 s[2:3], s[38:39]
	s_cbranch_execz .LBB5_22
; %bb.21:
	v_cvt_f32_u32_e32 v1, s12
	s_sub_i32 s20, 0, s12
	v_rcp_iflag_f32_e32 v1, v1
	s_nop 0
	v_mul_f32_e32 v1, 0x4f7ffffe, v1
	v_cvt_u32_f32_e32 v1, v1
	v_mul_lo_u32 v3, s20, v1
	v_mul_hi_u32 v3, v1, v3
	v_add_u32_e32 v1, v1, v3
	v_mul_hi_u32 v1, v8, v1
	v_mul_lo_u32 v3, v1, s12
	v_sub_u32_e32 v3, v8, v3
	v_add_u32_e32 v6, 1, v1
	v_subrev_u32_e32 v7, s12, v3
	v_cmp_le_u32_e32 vcc, s12, v3
	s_nop 1
	v_cndmask_b32_e32 v3, v3, v7, vcc
	v_cndmask_b32_e32 v1, v1, v6, vcc
	v_add_u32_e32 v6, 1, v1
	v_cmp_le_u32_e32 vcc, s12, v3
	v_mov_b32_e32 v7, 0
	s_nop 0
	v_cndmask_b32_e32 v6, v1, v6, vcc
.LBB5_22:
	s_or_b64 exec, exec, s[2:3]
.LBB5_23:
	s_or_b64 exec, exec, s[36:37]
	v_or_b32_e32 v9, s13, v5
	v_mov_b32_e32 v8, 0
	v_cmp_ne_u64_e32 vcc, 0, v[8:9]
                                        ; implicit-def: $vgpr10_vgpr11
	s_and_saveexec_b64 s[2:3], vcc
	s_xor_b64 s[36:37], exec, s[2:3]
	s_cbranch_execz .LBB5_25
; %bb.24:
	s_ashr_i32 s38, s13, 31
	s_add_u32 s2, s12, s38
	s_mov_b32 s39, s38
	s_addc_u32 s3, s13, s38
	s_xor_b64 s[40:41], s[2:3], s[38:39]
	v_cvt_f32_u32_e32 v1, s40
	v_cvt_f32_u32_e32 v3, s41
	s_sub_u32 s20, 0, s40
	s_subb_u32 s39, 0, s41
	v_ashrrev_i32_e32 v10, 31, v5
	v_fmamk_f32 v1, v3, 0x4f800000, v1
	v_rcp_f32_e32 v1, v1
	v_mov_b32_e32 v11, v10
	v_lshl_add_u64 v[12:13], v[4:5], 0, v[10:11]
	v_mov_b32_e32 v17, v8
	v_mul_f32_e32 v1, 0x5f7ffffc, v1
	v_mul_f32_e32 v3, 0x2f800000, v1
	v_trunc_f32_e32 v3, v3
	v_fmamk_f32 v1, v3, 0xcf800000, v1
	v_cvt_u32_f32_e32 v3, v3
	v_cvt_u32_f32_e32 v1, v1
	v_readfirstlane_b32 s42, v3
	v_readfirstlane_b32 s2, v1
	s_mul_i32 s3, s20, s42
	s_mul_hi_u32 s44, s20, s2
	s_mul_i32 s43, s39, s2
	s_add_i32 s3, s44, s3
	s_add_i32 s3, s3, s43
	s_mul_i32 s45, s20, s2
	s_mul_i32 s44, s2, s3
	s_mul_hi_u32 s46, s2, s45
	s_mul_hi_u32 s43, s2, s3
	s_add_u32 s44, s46, s44
	s_addc_u32 s43, 0, s43
	s_mul_hi_u32 s47, s42, s45
	s_mul_i32 s45, s42, s45
	s_add_u32 s44, s44, s45
	s_mul_hi_u32 s46, s42, s3
	s_addc_u32 s43, s43, s47
	s_addc_u32 s44, s46, 0
	s_mul_i32 s3, s42, s3
	s_add_u32 s3, s43, s3
	s_addc_u32 s43, 0, s44
	s_add_u32 s44, s2, s3
	s_cselect_b64 s[2:3], -1, 0
	s_cmp_lg_u64 s[2:3], 0
	s_addc_u32 s42, s42, s43
	s_mul_i32 s2, s20, s42
	s_mul_hi_u32 s3, s20, s44
	s_add_i32 s2, s3, s2
	s_mul_i32 s39, s39, s44
	s_add_i32 s2, s2, s39
	s_mul_i32 s20, s20, s44
	s_mul_hi_u32 s39, s42, s20
	s_mul_i32 s43, s42, s20
	s_mul_i32 s46, s44, s2
	s_mul_hi_u32 s20, s44, s20
	s_mul_hi_u32 s45, s44, s2
	s_add_u32 s20, s20, s46
	s_addc_u32 s45, 0, s45
	s_add_u32 s20, s20, s43
	s_mul_hi_u32 s3, s42, s2
	s_addc_u32 s20, s45, s39
	s_addc_u32 s3, s3, 0
	s_mul_i32 s2, s42, s2
	s_add_u32 s2, s20, s2
	s_addc_u32 s20, 0, s3
	s_add_u32 s39, s44, s2
	s_cselect_b64 s[2:3], -1, 0
	s_cmp_lg_u64 s[2:3], 0
	s_addc_u32 s20, s42, s20
	v_xor_b32_e32 v3, v12, v10
	v_xor_b32_e32 v1, v13, v10
	v_mad_u64_u32 v[12:13], s[2:3], v3, s20, 0
	v_mul_hi_u32 v16, v3, s39
	v_lshl_add_u64 v[12:13], v[16:17], 0, v[12:13]
	v_mad_u64_u32 v[18:19], s[2:3], v1, s39, 0
	v_add_co_u32_e32 v9, vcc, v12, v18
	v_mad_u64_u32 v[16:17], s[2:3], v1, s20, 0
	s_nop 0
	v_addc_co_u32_e32 v12, vcc, v13, v19, vcc
	v_mov_b32_e32 v13, v8
	s_nop 0
	v_addc_co_u32_e32 v17, vcc, 0, v17, vcc
	v_lshl_add_u64 v[8:9], v[12:13], 0, v[16:17]
	v_mul_lo_u32 v11, s41, v8
	v_mul_lo_u32 v15, s40, v9
	v_mad_u64_u32 v[12:13], s[2:3], s40, v8, 0
	v_add3_u32 v11, v13, v15, v11
	v_sub_u32_e32 v13, v1, v11
	v_mov_b32_e32 v15, s41
	v_sub_co_u32_e32 v3, vcc, v3, v12
	v_lshl_add_u64 v[16:17], v[8:9], 0, 1
	s_nop 0
	v_subb_co_u32_e64 v12, s[2:3], v13, v15, vcc
	v_subrev_co_u32_e64 v13, s[2:3], s40, v3
	v_subb_co_u32_e32 v1, vcc, v1, v11, vcc
	s_nop 0
	v_subbrev_co_u32_e64 v12, s[2:3], 0, v12, s[2:3]
	v_cmp_le_u32_e64 s[2:3], s41, v12
	v_cmp_le_u32_e32 vcc, s41, v1
	s_nop 0
	v_cndmask_b32_e64 v15, 0, -1, s[2:3]
	v_cmp_le_u32_e64 s[2:3], s40, v13
	v_cndmask_b32_e64 v11, 0, -1, vcc
	v_cmp_le_u32_e32 vcc, s40, v3
	v_cndmask_b32_e64 v13, 0, -1, s[2:3]
	v_cmp_eq_u32_e64 s[2:3], s41, v12
	v_cndmask_b32_e64 v3, 0, -1, vcc
	v_cmp_eq_u32_e32 vcc, s41, v1
	v_cndmask_b32_e64 v15, v15, v13, s[2:3]
	v_lshl_add_u64 v[12:13], v[8:9], 0, 2
	v_cmp_ne_u32_e64 s[2:3], 0, v15
	v_cndmask_b32_e32 v1, v11, v3, vcc
	v_cmp_ne_u32_e32 vcc, 0, v1
	v_cndmask_b32_e64 v3, v16, v12, s[2:3]
	v_cndmask_b32_e64 v13, v17, v13, s[2:3]
	v_cndmask_b32_e32 v3, v8, v3, vcc
	v_xor_b32_e32 v8, s38, v10
	v_cndmask_b32_e32 v1, v9, v13, vcc
	v_xor_b32_e32 v3, v3, v8
	v_xor_b32_e32 v1, v1, v8
	v_sub_co_u32_e32 v10, vcc, v3, v8
	s_nop 1
	v_subb_co_u32_e32 v11, vcc, v1, v8, vcc
.LBB5_25:
	s_andn2_saveexec_b64 s[2:3], s[36:37]
	s_cbranch_execz .LBB5_27
; %bb.26:
	v_cvt_f32_u32_e32 v1, s12
	s_sub_i32 s20, 0, s12
	v_mov_b32_e32 v11, 0
	v_rcp_iflag_f32_e32 v1, v1
	s_nop 0
	v_mul_f32_e32 v1, 0x4f7ffffe, v1
	v_cvt_u32_f32_e32 v1, v1
	v_mul_lo_u32 v3, s20, v1
	v_mul_hi_u32 v3, v1, v3
	v_add_u32_e32 v1, v1, v3
	v_mul_hi_u32 v1, v4, v1
	v_mul_lo_u32 v3, v1, s12
	v_sub_u32_e32 v3, v4, v3
	v_add_u32_e32 v8, 1, v1
	v_subrev_u32_e32 v9, s12, v3
	v_cmp_le_u32_e32 vcc, s12, v3
	s_nop 1
	v_cndmask_b32_e32 v3, v3, v9, vcc
	v_cndmask_b32_e32 v1, v1, v8, vcc
	v_add_u32_e32 v8, 1, v1
	v_cmp_le_u32_e32 vcc, s12, v3
	s_nop 1
	v_cndmask_b32_e32 v10, v1, v8, vcc
.LBB5_27:
	s_or_b64 exec, exec, s[2:3]
	v_mul_lo_u32 v1, v7, s12
	v_mul_lo_u32 v3, v6, s13
	v_mad_u64_u32 v[8:9], s[2:3], v6, s12, 0
	v_add3_u32 v9, v9, v3, v1
	v_cmp_gt_i64_e32 vcc, v[8:9], v[4:5]
	v_mov_b64_e32 v[8:9], s[10:11]
	v_mad_u64_u32 v[8:9], s[2:3], v6, s12, v[8:9]
	v_add3_u32 v9, v1, v9, v3
	v_cmp_ge_i64_e64 s[2:3], v[4:5], v[8:9]
	s_or_b64 s[2:3], vcc, s[2:3]
	v_mov_b32_e32 v1, s15
	v_cndmask_b32_e64 v8, 0, 1, s[2:3]
	s_mov_b32 s2, 0
	v_mov_b32_e32 v9, s2
	v_cmp_gt_i64_e32 vcc, s[14:15], v[10:11]
	v_lshl_add_u64 v[12:13], v[6:7], 0, v[8:9]
	s_nop 0
	v_cndmask_b32_e32 v7, v1, v11, vcc
	v_mov_b32_e32 v1, s14
	v_cndmask_b32_e32 v6, v1, v10, vcc
	v_cmp_le_i64_e32 vcc, v[12:13], v[6:7]
	s_and_saveexec_b64 s[2:3], vcc
	s_cbranch_execz .LBB5_30
; %bb.28:
	global_load_dwordx2 v[8:9], v2, s[4:5]
	v_mul_lo_u32 v15, s13, v12
	v_mul_lo_u32 v18, s12, v13
	v_mad_u64_u32 v[16:17], s[36:37], s12, v12, 0
	v_add3_u32 v15, v17, v18, v15
	v_sub_co_u32_e32 v4, vcc, v4, v16
	v_mov_b32_e32 v3, 0
	s_nop 0
	v_subb_co_u32_e32 v5, vcc, v5, v15, vcc
	v_mul_lo_u32 v15, s19, v4
	v_mul_lo_u32 v16, s18, v5
	v_mad_u64_u32 v[4:5], s[36:37], s18, v4, 0
	v_lshl_add_u64 v[10:11], s[4:5], 0, v[2:3]
	v_mov_b32_e32 v1, v3
	v_lshl_add_u64 v[2:3], v[12:13], 0, -1
	v_add3_u32 v5, v5, v16, v15
	v_mul_lo_u32 v15, s17, v12
	v_mul_lo_u32 v16, s16, v13
	v_mad_u64_u32 v[12:13], s[36:37], s16, v12, 0
	s_mul_i32 s20, s12, s19
	s_mul_hi_u32 s38, s12, s18
	v_add3_u32 v13, v13, v16, v15
	s_add_i32 s20, s38, s20
	s_mul_i32 s38, s13, s18
	v_lshlrev_b64 v[12:13], 3, v[12:13]
	s_add_i32 s39, s20, s38
	s_mul_i32 s38, s12, s18
	v_lshl_add_u64 v[4:5], v[4:5], 3, v[12:13]
	s_lshl_b64 s[36:37], s[16:17], 3
	s_lshl_b64 s[38:39], s[38:39], 3
	v_lshl_add_u64 v[0:1], v[4:5], 0, v[0:1]
	s_sub_u32 s36, s36, s38
	v_lshl_add_u64 v[0:1], s[6:7], 0, v[0:1]
	s_subb_u32 s37, s37, s39
	s_mov_b64 s[38:39], 0
.LBB5_29:                               ; =>This Inner Loop Header: Depth=1
	global_load_dwordx2 v[4:5], v[0:1], off
	v_lshl_add_u64 v[2:3], v[2:3], 0, 1
	v_cmp_ge_i64_e32 vcc, v[2:3], v[6:7]
	v_lshl_add_u64 v[0:1], v[0:1], 0, s[36:37]
	s_or_b64 s[38:39], vcc, s[38:39]
	s_waitcnt vmcnt(0)
	v_add_f64 v[8:9], v[8:9], v[4:5]
	global_store_dwordx2 v[10:11], v[8:9], off
	s_andn2_b64 exec, exec, s[38:39]
	s_cbranch_execnz .LBB5_29
.LBB5_30:
	s_or_b64 exec, exec, s[2:3]
	v_add_u32_e32 v14, 0x100, v14
	s_or_b64 exec, exec, s[66:67]
	v_cmp_gt_i32_e32 vcc, s70, v14
	s_and_saveexec_b64 s[66:67], vcc
	s_cbranch_execz .LBB5_2
.LBB5_31:
	s_and_b64 vcc, exec, s[0:1]
	s_cbranch_vccnz .LBB5_37
; %bb.32:
	v_mov_b32_e32 v4, 0
	s_andn2_b64 vcc, exec, s[64:65]
	v_mov_b32_e32 v0, 0
	v_mov_b32_e32 v2, 0
	s_cbranch_vccnz .LBB5_41
; %bb.33:
	s_add_i32 s71, s69, 1
	s_cmp_eq_u32 s68, 2
	s_cbranch_scc1 .LBB5_38
; %bb.34:
	s_and_b32 s20, s71, 28
	v_mov_b32_e32 v2, 0
	s_mov_b32 s72, 0
	s_mov_b64 s[2:3], s[62:63]
	v_mov_b32_e32 v6, v14
	v_mov_b32_e32 v0, 0
	;; [unrolled: 1-line block ×3, first 2 shown]
.LBB5_35:                               ; =>This Inner Loop Header: Depth=1
	s_load_dwordx8 s[36:43], s[2:3], 0x0
	s_load_dwordx4 s[52:55], s[2:3], 0x20
	s_load_dwordx4 s[56:59], s[2:3], 0xe0
	s_load_dwordx8 s[44:51], s[2:3], 0xc0
	s_add_i32 s72, s72, 4
	s_waitcnt lgkmcnt(0)
	v_mul_hi_u32 v1, s37, v6
	v_add_u32_e32 v1, v6, v1
	v_lshrrev_b32_e32 v1, s38, v1
	v_mul_hi_u32 v5, s40, v1
	v_add_u32_e32 v5, v1, v5
	v_lshrrev_b32_e32 v5, s41, v5
	v_mul_lo_u32 v3, v1, s36
	v_mul_lo_u32 v8, v5, s39
	v_mul_hi_u32 v9, s43, v5
	v_sub_u32_e32 v3, v6, v3
	v_sub_u32_e32 v1, v1, v8
	v_add_u32_e32 v8, v5, v9
	v_mul_lo_u32 v6, v3, s44
	v_mul_lo_u32 v7, v3, s46
	;; [unrolled: 1-line block ×6, first 2 shown]
	v_lshrrev_b32_e32 v8, s52, v8
	v_add3_u32 v0, v3, v0, v1
	v_add3_u32 v1, v7, v4, v10
	v_mul_hi_u32 v4, s54, v8
	v_add_u32_e32 v4, v8, v4
	v_add3_u32 v2, v6, v2, v9
	v_lshrrev_b32_e32 v6, s55, v4
	v_mul_lo_u32 v3, v8, s42
	v_mul_lo_u32 v4, v6, s53
	s_add_u32 s2, s2, 48
	v_sub_u32_e32 v3, v5, v3
	v_sub_u32_e32 v4, v8, v4
	s_addc_u32 s3, s3, 0
	v_mul_lo_u32 v5, v3, s50
	v_mul_lo_u32 v7, v3, s51
	;; [unrolled: 1-line block ×6, first 2 shown]
	s_cmp_eq_u32 s20, s72
	v_add3_u32 v2, v5, v2, v8
	v_add3_u32 v4, v3, v1, v4
	;; [unrolled: 1-line block ×3, first 2 shown]
	s_cbranch_scc0 .LBB5_35
; %bb.36:
	v_mov_b32_e32 v1, v4
	s_and_b32 s36, s71, 3
	s_cmp_eq_u32 s36, 0
	s_cbranch_scc0 .LBB5_39
	s_branch .LBB5_41
.LBB5_37:
                                        ; implicit-def: $vgpr4
                                        ; implicit-def: $vgpr0
                                        ; implicit-def: $vgpr2
	s_branch .LBB5_42
.LBB5_38:
	v_mov_b32_e32 v0, 0
	s_mov_b32 s20, 0
	v_mov_b32_e32 v1, v0
                                        ; implicit-def: $vgpr4
	v_mov_b32_e32 v6, v14
	v_mov_b32_e32 v2, v0
	s_and_b32 s36, s71, 3
	s_cmp_eq_u32 s36, 0
	s_cbranch_scc1 .LBB5_41
.LBB5_39:
	s_mul_i32 s2, s20, 12
	s_add_u32 s2, s27, s2
	s_addc_u32 s3, s33, 0
	s_add_u32 s2, s2, 4
	s_addc_u32 s3, s3, 0
.LBB5_40:                               ; =>This Inner Loop Header: Depth=1
	s_load_dwordx2 s[38:39], s[2:3], 0x0
	s_load_dword s20, s[2:3], 0x8
	s_load_dwordx2 s[40:41], s[2:3], 0xc0
	s_load_dword s37, s[2:3], 0xc8
	v_mov_b32_e32 v4, v1
	s_waitcnt lgkmcnt(0)
	v_mul_hi_u32 v1, s39, v6
	v_add_u32_e32 v1, v6, v1
	v_lshrrev_b32_e32 v1, s20, v1
	v_mul_lo_u32 v3, v1, s38
	s_add_u32 s2, s2, 12
	v_sub_u32_e32 v7, v6, v3
	s_addc_u32 s3, s3, 0
	s_add_i32 s36, s36, -1
	v_mov_b32_e32 v6, v1
	v_mad_u64_u32 v[4:5], s[38:39], v7, s37, v[4:5]
	v_mad_u64_u32 v[0:1], s[38:39], v7, s41, v[0:1]
	s_cmp_lg_u32 s36, 0
	v_mad_u64_u32 v[2:3], s[38:39], v7, s40, v[2:3]
	v_mov_b32_e32 v1, v4
	s_cbranch_scc1 .LBB5_40
.LBB5_41:
	s_cbranch_execnz .LBB5_44
.LBB5_42:
	v_mul_hi_u32 v0, s22, v14
	v_add_u32_e32 v0, v14, v0
	v_lshrrev_b32_e32 v1, s23, v0
	v_mul_lo_u32 v0, v1, s21
	v_sub_u32_e32 v0, v14, v0
	v_mul_lo_u32 v2, v0, s28
	v_mul_lo_u32 v4, v0, s30
	s_andn2_b64 vcc, exec, s[60:61]
	v_mul_lo_u32 v0, v0, s29
	s_cbranch_vccnz .LBB5_44
; %bb.43:
	v_mul_hi_u32 v3, s25, v1
	v_add_u32_e32 v3, v1, v3
	v_lshrrev_b32_e32 v3, s26, v3
	v_mul_lo_u32 v3, v3, s24
	v_sub_u32_e32 v5, v1, v3
	v_mad_u64_u32 v[2:3], s[2:3], v5, s31, v[2:3]
	v_mad_u64_u32 v[0:1], s[2:3], v5, s34, v[0:1]
	;; [unrolled: 1-line block ×3, first 2 shown]
.LBB5_44:
	global_load_dwordx2 v[4:5], v4, s[8:9]
	v_mov_b64_e32 v[6:7], 0
	s_waitcnt vmcnt(0)
	v_cmp_lt_i64_e32 vcc, s[10:11], v[4:5]
	s_and_saveexec_b64 s[36:37], vcc
	s_cbranch_execz .LBB5_50
; %bb.45:
	v_mov_b32_e32 v1, s11
	v_subrev_co_u32_e32 v8, vcc, s10, v4
	v_mov_b32_e32 v10, 0
	s_nop 0
	v_subb_co_u32_e32 v9, vcc, v5, v1, vcc
	v_or_b32_e32 v11, s13, v9
	v_cmp_ne_u64_e32 vcc, 0, v[10:11]
                                        ; implicit-def: $vgpr6_vgpr7
	s_and_saveexec_b64 s[2:3], vcc
	s_xor_b64 s[38:39], exec, s[2:3]
	s_cbranch_execz .LBB5_47
; %bb.46:
	s_ashr_i32 s40, s13, 31
	s_add_u32 s2, s12, s40
	s_mov_b32 s41, s40
	s_addc_u32 s3, s13, s40
	s_xor_b64 s[42:43], s[2:3], s[40:41]
	v_cvt_f32_u32_e32 v1, s42
	v_cvt_f32_u32_e32 v3, s43
	s_sub_u32 s20, 0, s42
	s_subb_u32 s41, 0, s43
	v_ashrrev_i32_e32 v6, 31, v9
	v_fmamk_f32 v1, v3, 0x4f800000, v1
	v_rcp_f32_e32 v1, v1
	v_mov_b32_e32 v7, v6
	v_lshl_add_u64 v[8:9], v[8:9], 0, v[6:7]
	v_mov_b32_e32 v13, v10
	v_mul_f32_e32 v1, 0x5f7ffffc, v1
	v_mul_f32_e32 v3, 0x2f800000, v1
	v_trunc_f32_e32 v3, v3
	v_fmamk_f32 v1, v3, 0xcf800000, v1
	v_cvt_u32_f32_e32 v3, v3
	v_cvt_u32_f32_e32 v1, v1
	v_readfirstlane_b32 s44, v3
	v_readfirstlane_b32 s2, v1
	s_mul_i32 s3, s20, s44
	s_mul_hi_u32 s46, s20, s2
	s_mul_i32 s45, s41, s2
	s_add_i32 s3, s46, s3
	s_add_i32 s3, s3, s45
	s_mul_i32 s47, s20, s2
	s_mul_i32 s46, s2, s3
	s_mul_hi_u32 s48, s2, s47
	s_mul_hi_u32 s45, s2, s3
	s_add_u32 s46, s48, s46
	s_addc_u32 s45, 0, s45
	s_mul_hi_u32 s49, s44, s47
	s_mul_i32 s47, s44, s47
	s_add_u32 s46, s46, s47
	s_mul_hi_u32 s48, s44, s3
	s_addc_u32 s45, s45, s49
	s_addc_u32 s46, s48, 0
	s_mul_i32 s3, s44, s3
	s_add_u32 s3, s45, s3
	s_addc_u32 s45, 0, s46
	s_add_u32 s46, s2, s3
	s_cselect_b64 s[2:3], -1, 0
	s_cmp_lg_u64 s[2:3], 0
	s_addc_u32 s44, s44, s45
	s_mul_i32 s2, s20, s44
	s_mul_hi_u32 s3, s20, s46
	s_add_i32 s2, s3, s2
	s_mul_i32 s41, s41, s46
	s_add_i32 s2, s2, s41
	s_mul_i32 s20, s20, s46
	s_mul_hi_u32 s41, s44, s20
	s_mul_i32 s45, s44, s20
	s_mul_i32 s48, s46, s2
	s_mul_hi_u32 s20, s46, s20
	s_mul_hi_u32 s47, s46, s2
	s_add_u32 s20, s20, s48
	s_addc_u32 s47, 0, s47
	s_add_u32 s20, s20, s45
	s_mul_hi_u32 s3, s44, s2
	s_addc_u32 s20, s47, s41
	s_addc_u32 s3, s3, 0
	s_mul_i32 s2, s44, s2
	s_add_u32 s2, s20, s2
	s_addc_u32 s20, 0, s3
	s_add_u32 s41, s46, s2
	s_cselect_b64 s[2:3], -1, 0
	s_cmp_lg_u64 s[2:3], 0
	s_addc_u32 s20, s44, s20
	v_xor_b32_e32 v3, v8, v6
	v_xor_b32_e32 v1, v9, v6
	v_mad_u64_u32 v[8:9], s[2:3], v3, s20, 0
	v_mul_hi_u32 v12, v3, s41
	v_lshl_add_u64 v[8:9], v[12:13], 0, v[8:9]
	v_mad_u64_u32 v[16:17], s[2:3], v1, s41, 0
	v_add_co_u32_e32 v7, vcc, v8, v16
	v_mad_u64_u32 v[12:13], s[2:3], v1, s20, 0
	s_nop 0
	v_addc_co_u32_e32 v8, vcc, v9, v17, vcc
	v_mov_b32_e32 v9, v10
	s_nop 0
	v_addc_co_u32_e32 v13, vcc, 0, v13, vcc
	v_lshl_add_u64 v[8:9], v[8:9], 0, v[12:13]
	v_mul_lo_u32 v7, s43, v8
	v_mul_lo_u32 v12, s42, v9
	v_mad_u64_u32 v[10:11], s[2:3], s42, v8, 0
	v_add3_u32 v7, v11, v12, v7
	v_sub_u32_e32 v11, v1, v7
	v_mov_b32_e32 v12, s43
	v_sub_co_u32_e32 v3, vcc, v3, v10
	s_nop 1
	v_subb_co_u32_e64 v10, s[2:3], v11, v12, vcc
	v_subrev_co_u32_e64 v11, s[2:3], s42, v3
	v_subb_co_u32_e32 v1, vcc, v1, v7, vcc
	s_nop 0
	v_subbrev_co_u32_e64 v10, s[2:3], 0, v10, s[2:3]
	v_cmp_le_u32_e64 s[2:3], s43, v10
	v_cmp_le_u32_e32 vcc, s43, v1
	s_nop 0
	v_cndmask_b32_e64 v12, 0, -1, s[2:3]
	v_cmp_le_u32_e64 s[2:3], s42, v11
	v_cndmask_b32_e64 v7, 0, -1, vcc
	v_cmp_le_u32_e32 vcc, s42, v3
	v_cndmask_b32_e64 v11, 0, -1, s[2:3]
	v_cmp_eq_u32_e64 s[2:3], s43, v10
	v_cndmask_b32_e64 v3, 0, -1, vcc
	v_cmp_eq_u32_e32 vcc, s43, v1
	v_cndmask_b32_e64 v15, v12, v11, s[2:3]
	v_lshl_add_u64 v[10:11], v[8:9], 0, 2
	v_lshl_add_u64 v[12:13], v[8:9], 0, 1
	v_cmp_ne_u32_e64 s[2:3], 0, v15
	v_cndmask_b32_e32 v1, v7, v3, vcc
	v_cmp_ne_u32_e32 vcc, 0, v1
	v_cndmask_b32_e64 v3, v12, v10, s[2:3]
	v_cndmask_b32_e64 v11, v13, v11, s[2:3]
	v_cndmask_b32_e32 v3, v8, v3, vcc
	v_xor_b32_e32 v7, s40, v6
	v_cndmask_b32_e32 v1, v9, v11, vcc
	v_xor_b32_e32 v3, v3, v7
	v_xor_b32_e32 v1, v1, v7
	v_sub_co_u32_e32 v6, vcc, v3, v7
                                        ; implicit-def: $vgpr8
	s_nop 1
	v_subb_co_u32_e32 v7, vcc, v1, v7, vcc
.LBB5_47:
	s_andn2_saveexec_b64 s[2:3], s[38:39]
	s_cbranch_execz .LBB5_49
; %bb.48:
	v_cvt_f32_u32_e32 v1, s12
	s_sub_i32 s20, 0, s12
	v_rcp_iflag_f32_e32 v1, v1
	s_nop 0
	v_mul_f32_e32 v1, 0x4f7ffffe, v1
	v_cvt_u32_f32_e32 v1, v1
	v_mul_lo_u32 v3, s20, v1
	v_mul_hi_u32 v3, v1, v3
	v_add_u32_e32 v1, v1, v3
	v_mul_hi_u32 v1, v8, v1
	v_mul_lo_u32 v3, v1, s12
	v_sub_u32_e32 v3, v8, v3
	v_add_u32_e32 v6, 1, v1
	v_subrev_u32_e32 v7, s12, v3
	v_cmp_le_u32_e32 vcc, s12, v3
	s_nop 1
	v_cndmask_b32_e32 v3, v3, v7, vcc
	v_cndmask_b32_e32 v1, v1, v6, vcc
	v_add_u32_e32 v6, 1, v1
	v_cmp_le_u32_e32 vcc, s12, v3
	v_mov_b32_e32 v7, 0
	s_nop 0
	v_cndmask_b32_e32 v6, v1, v6, vcc
.LBB5_49:
	s_or_b64 exec, exec, s[2:3]
.LBB5_50:
	s_or_b64 exec, exec, s[36:37]
	v_or_b32_e32 v9, s13, v5
	v_mov_b32_e32 v8, 0
	v_cmp_ne_u64_e32 vcc, 0, v[8:9]
                                        ; implicit-def: $vgpr10_vgpr11
	s_and_saveexec_b64 s[2:3], vcc
	s_xor_b64 s[36:37], exec, s[2:3]
	s_cbranch_execz .LBB5_52
; %bb.51:
	s_ashr_i32 s38, s13, 31
	s_add_u32 s2, s12, s38
	s_mov_b32 s39, s38
	s_addc_u32 s3, s13, s38
	s_xor_b64 s[40:41], s[2:3], s[38:39]
	v_cvt_f32_u32_e32 v1, s40
	v_cvt_f32_u32_e32 v3, s41
	s_sub_u32 s20, 0, s40
	s_subb_u32 s39, 0, s41
	v_ashrrev_i32_e32 v10, 31, v5
	v_fmamk_f32 v1, v3, 0x4f800000, v1
	v_rcp_f32_e32 v1, v1
	v_mov_b32_e32 v11, v10
	v_lshl_add_u64 v[12:13], v[4:5], 0, v[10:11]
	v_mov_b32_e32 v17, v8
	v_mul_f32_e32 v1, 0x5f7ffffc, v1
	v_mul_f32_e32 v3, 0x2f800000, v1
	v_trunc_f32_e32 v3, v3
	v_fmamk_f32 v1, v3, 0xcf800000, v1
	v_cvt_u32_f32_e32 v3, v3
	v_cvt_u32_f32_e32 v1, v1
	v_readfirstlane_b32 s42, v3
	v_readfirstlane_b32 s2, v1
	s_mul_i32 s3, s20, s42
	s_mul_hi_u32 s44, s20, s2
	s_mul_i32 s43, s39, s2
	s_add_i32 s3, s44, s3
	s_add_i32 s3, s3, s43
	s_mul_i32 s45, s20, s2
	s_mul_i32 s44, s2, s3
	s_mul_hi_u32 s46, s2, s45
	s_mul_hi_u32 s43, s2, s3
	s_add_u32 s44, s46, s44
	s_addc_u32 s43, 0, s43
	s_mul_hi_u32 s47, s42, s45
	s_mul_i32 s45, s42, s45
	s_add_u32 s44, s44, s45
	s_mul_hi_u32 s46, s42, s3
	s_addc_u32 s43, s43, s47
	s_addc_u32 s44, s46, 0
	s_mul_i32 s3, s42, s3
	s_add_u32 s3, s43, s3
	s_addc_u32 s43, 0, s44
	s_add_u32 s44, s2, s3
	s_cselect_b64 s[2:3], -1, 0
	s_cmp_lg_u64 s[2:3], 0
	s_addc_u32 s42, s42, s43
	s_mul_i32 s2, s20, s42
	s_mul_hi_u32 s3, s20, s44
	s_add_i32 s2, s3, s2
	s_mul_i32 s39, s39, s44
	s_add_i32 s2, s2, s39
	s_mul_i32 s20, s20, s44
	s_mul_hi_u32 s39, s42, s20
	s_mul_i32 s43, s42, s20
	s_mul_i32 s46, s44, s2
	s_mul_hi_u32 s20, s44, s20
	s_mul_hi_u32 s45, s44, s2
	s_add_u32 s20, s20, s46
	s_addc_u32 s45, 0, s45
	s_add_u32 s20, s20, s43
	s_mul_hi_u32 s3, s42, s2
	s_addc_u32 s20, s45, s39
	s_addc_u32 s3, s3, 0
	s_mul_i32 s2, s42, s2
	s_add_u32 s2, s20, s2
	s_addc_u32 s20, 0, s3
	s_add_u32 s39, s44, s2
	s_cselect_b64 s[2:3], -1, 0
	s_cmp_lg_u64 s[2:3], 0
	s_addc_u32 s20, s42, s20
	v_xor_b32_e32 v3, v12, v10
	v_xor_b32_e32 v1, v13, v10
	v_mad_u64_u32 v[12:13], s[2:3], v3, s20, 0
	v_mul_hi_u32 v16, v3, s39
	v_lshl_add_u64 v[12:13], v[16:17], 0, v[12:13]
	v_mad_u64_u32 v[18:19], s[2:3], v1, s39, 0
	v_add_co_u32_e32 v9, vcc, v12, v18
	v_mad_u64_u32 v[16:17], s[2:3], v1, s20, 0
	s_nop 0
	v_addc_co_u32_e32 v12, vcc, v13, v19, vcc
	v_mov_b32_e32 v13, v8
	s_nop 0
	v_addc_co_u32_e32 v17, vcc, 0, v17, vcc
	v_lshl_add_u64 v[8:9], v[12:13], 0, v[16:17]
	v_mul_lo_u32 v11, s41, v8
	v_mul_lo_u32 v15, s40, v9
	v_mad_u64_u32 v[12:13], s[2:3], s40, v8, 0
	v_add3_u32 v11, v13, v15, v11
	v_sub_u32_e32 v13, v1, v11
	v_mov_b32_e32 v15, s41
	v_sub_co_u32_e32 v3, vcc, v3, v12
	v_lshl_add_u64 v[16:17], v[8:9], 0, 1
	s_nop 0
	v_subb_co_u32_e64 v12, s[2:3], v13, v15, vcc
	v_subrev_co_u32_e64 v13, s[2:3], s40, v3
	v_subb_co_u32_e32 v1, vcc, v1, v11, vcc
	s_nop 0
	v_subbrev_co_u32_e64 v12, s[2:3], 0, v12, s[2:3]
	v_cmp_le_u32_e64 s[2:3], s41, v12
	v_cmp_le_u32_e32 vcc, s41, v1
	s_nop 0
	v_cndmask_b32_e64 v15, 0, -1, s[2:3]
	v_cmp_le_u32_e64 s[2:3], s40, v13
	v_cndmask_b32_e64 v11, 0, -1, vcc
	v_cmp_le_u32_e32 vcc, s40, v3
	v_cndmask_b32_e64 v13, 0, -1, s[2:3]
	v_cmp_eq_u32_e64 s[2:3], s41, v12
	v_cndmask_b32_e64 v3, 0, -1, vcc
	v_cmp_eq_u32_e32 vcc, s41, v1
	v_cndmask_b32_e64 v15, v15, v13, s[2:3]
	v_lshl_add_u64 v[12:13], v[8:9], 0, 2
	v_cmp_ne_u32_e64 s[2:3], 0, v15
	v_cndmask_b32_e32 v1, v11, v3, vcc
	v_cmp_ne_u32_e32 vcc, 0, v1
	v_cndmask_b32_e64 v3, v16, v12, s[2:3]
	v_cndmask_b32_e64 v13, v17, v13, s[2:3]
	v_cndmask_b32_e32 v3, v8, v3, vcc
	v_xor_b32_e32 v8, s38, v10
	v_cndmask_b32_e32 v1, v9, v13, vcc
	v_xor_b32_e32 v3, v3, v8
	v_xor_b32_e32 v1, v1, v8
	v_sub_co_u32_e32 v10, vcc, v3, v8
	s_nop 1
	v_subb_co_u32_e32 v11, vcc, v1, v8, vcc
.LBB5_52:
	s_andn2_saveexec_b64 s[2:3], s[36:37]
	s_cbranch_execz .LBB5_54
; %bb.53:
	v_cvt_f32_u32_e32 v1, s12
	s_sub_i32 s20, 0, s12
	v_mov_b32_e32 v11, 0
	v_rcp_iflag_f32_e32 v1, v1
	s_nop 0
	v_mul_f32_e32 v1, 0x4f7ffffe, v1
	v_cvt_u32_f32_e32 v1, v1
	v_mul_lo_u32 v3, s20, v1
	v_mul_hi_u32 v3, v1, v3
	v_add_u32_e32 v1, v1, v3
	v_mul_hi_u32 v1, v4, v1
	v_mul_lo_u32 v3, v1, s12
	v_sub_u32_e32 v3, v4, v3
	v_add_u32_e32 v8, 1, v1
	v_subrev_u32_e32 v9, s12, v3
	v_cmp_le_u32_e32 vcc, s12, v3
	s_nop 1
	v_cndmask_b32_e32 v3, v3, v9, vcc
	v_cndmask_b32_e32 v1, v1, v8, vcc
	v_add_u32_e32 v8, 1, v1
	v_cmp_le_u32_e32 vcc, s12, v3
	s_nop 1
	v_cndmask_b32_e32 v10, v1, v8, vcc
.LBB5_54:
	s_or_b64 exec, exec, s[2:3]
	v_mul_lo_u32 v1, v7, s12
	v_mul_lo_u32 v3, v6, s13
	v_mad_u64_u32 v[8:9], s[2:3], v6, s12, 0
	v_add3_u32 v9, v9, v3, v1
	v_cmp_gt_i64_e32 vcc, v[8:9], v[4:5]
	v_mov_b64_e32 v[8:9], s[10:11]
	v_mad_u64_u32 v[8:9], s[2:3], v6, s12, v[8:9]
	v_add3_u32 v9, v1, v9, v3
	v_cmp_ge_i64_e64 s[2:3], v[4:5], v[8:9]
	s_or_b64 s[2:3], vcc, s[2:3]
	v_mov_b32_e32 v1, s15
	v_cndmask_b32_e64 v8, 0, 1, s[2:3]
	s_mov_b32 s2, 0
	v_mov_b32_e32 v9, s2
	v_cmp_gt_i64_e32 vcc, s[14:15], v[10:11]
	v_lshl_add_u64 v[12:13], v[6:7], 0, v[8:9]
	s_nop 0
	v_cndmask_b32_e32 v7, v1, v11, vcc
	v_mov_b32_e32 v1, s14
	v_cndmask_b32_e32 v6, v1, v10, vcc
	v_cmp_le_i64_e32 vcc, v[12:13], v[6:7]
	s_and_saveexec_b64 s[2:3], vcc
	s_cbranch_execz .LBB5_57
; %bb.55:
	global_load_dwordx2 v[8:9], v2, s[4:5]
	v_mul_lo_u32 v15, s13, v12
	v_mul_lo_u32 v18, s12, v13
	v_mad_u64_u32 v[16:17], s[36:37], s12, v12, 0
	v_add3_u32 v15, v17, v18, v15
	v_sub_co_u32_e32 v4, vcc, v4, v16
	v_mov_b32_e32 v3, 0
	s_nop 0
	v_subb_co_u32_e32 v5, vcc, v5, v15, vcc
	v_mul_lo_u32 v15, s19, v4
	v_mul_lo_u32 v16, s18, v5
	v_mad_u64_u32 v[4:5], s[36:37], s18, v4, 0
	v_lshl_add_u64 v[10:11], s[4:5], 0, v[2:3]
	v_mov_b32_e32 v1, v3
	v_lshl_add_u64 v[2:3], v[12:13], 0, -1
	v_add3_u32 v5, v5, v16, v15
	v_mul_lo_u32 v15, s17, v12
	v_mul_lo_u32 v16, s16, v13
	v_mad_u64_u32 v[12:13], s[36:37], s16, v12, 0
	s_mul_i32 s20, s12, s19
	s_mul_hi_u32 s38, s12, s18
	v_add3_u32 v13, v13, v16, v15
	s_add_i32 s20, s38, s20
	s_mul_i32 s38, s13, s18
	v_lshlrev_b64 v[12:13], 3, v[12:13]
	s_add_i32 s39, s20, s38
	s_mul_i32 s38, s12, s18
	v_lshl_add_u64 v[4:5], v[4:5], 3, v[12:13]
	s_lshl_b64 s[36:37], s[16:17], 3
	s_lshl_b64 s[38:39], s[38:39], 3
	v_lshl_add_u64 v[0:1], v[4:5], 0, v[0:1]
	s_sub_u32 s36, s36, s38
	v_lshl_add_u64 v[0:1], s[6:7], 0, v[0:1]
	s_subb_u32 s37, s37, s39
	s_mov_b64 s[38:39], 0
.LBB5_56:                               ; =>This Inner Loop Header: Depth=1
	global_load_dwordx2 v[4:5], v[0:1], off
	v_lshl_add_u64 v[2:3], v[2:3], 0, 1
	v_cmp_ge_i64_e32 vcc, v[2:3], v[6:7]
	v_lshl_add_u64 v[0:1], v[0:1], 0, s[36:37]
	s_or_b64 s[38:39], vcc, s[38:39]
	s_waitcnt vmcnt(0)
	v_add_f64 v[8:9], v[8:9], v[4:5]
	global_store_dwordx2 v[10:11], v[8:9], off
	s_andn2_b64 exec, exec, s[38:39]
	s_cbranch_execnz .LBB5_56
.LBB5_57:
	s_or_b64 exec, exec, s[2:3]
	v_add_u32_e32 v14, 0x100, v14
	s_or_b64 exec, exec, s[66:67]
	v_cmp_gt_i32_e32 vcc, s70, v14
	s_and_saveexec_b64 s[66:67], vcc
	s_cbranch_execz .LBB5_3
.LBB5_58:
	s_and_b64 vcc, exec, s[0:1]
	s_cbranch_vccnz .LBB5_64
; %bb.59:
	v_mov_b32_e32 v4, 0
	s_andn2_b64 vcc, exec, s[64:65]
	v_mov_b32_e32 v0, 0
	v_mov_b32_e32 v2, 0
	s_cbranch_vccnz .LBB5_68
; %bb.60:
	s_add_i32 s71, s69, 1
	s_cmp_eq_u32 s68, 2
	s_cbranch_scc1 .LBB5_65
; %bb.61:
	s_and_b32 s20, s71, 28
	v_mov_b32_e32 v2, 0
	s_mov_b32 s72, 0
	s_mov_b64 s[2:3], s[62:63]
	v_mov_b32_e32 v6, v14
	v_mov_b32_e32 v0, 0
	;; [unrolled: 1-line block ×3, first 2 shown]
.LBB5_62:                               ; =>This Inner Loop Header: Depth=1
	s_load_dwordx8 s[36:43], s[2:3], 0x0
	s_load_dwordx4 s[52:55], s[2:3], 0x20
	s_load_dwordx4 s[56:59], s[2:3], 0xe0
	s_load_dwordx8 s[44:51], s[2:3], 0xc0
	s_add_i32 s72, s72, 4
	s_waitcnt lgkmcnt(0)
	v_mul_hi_u32 v1, s37, v6
	v_add_u32_e32 v1, v6, v1
	v_lshrrev_b32_e32 v1, s38, v1
	v_mul_hi_u32 v5, s40, v1
	v_add_u32_e32 v5, v1, v5
	v_lshrrev_b32_e32 v5, s41, v5
	v_mul_lo_u32 v3, v1, s36
	v_mul_lo_u32 v8, v5, s39
	v_mul_hi_u32 v9, s43, v5
	v_sub_u32_e32 v3, v6, v3
	v_sub_u32_e32 v1, v1, v8
	v_add_u32_e32 v8, v5, v9
	v_mul_lo_u32 v6, v3, s44
	v_mul_lo_u32 v7, v3, s46
	;; [unrolled: 1-line block ×6, first 2 shown]
	v_lshrrev_b32_e32 v8, s52, v8
	v_add3_u32 v0, v3, v0, v1
	v_add3_u32 v1, v7, v4, v10
	v_mul_hi_u32 v4, s54, v8
	v_add_u32_e32 v4, v8, v4
	v_add3_u32 v2, v6, v2, v9
	v_lshrrev_b32_e32 v6, s55, v4
	v_mul_lo_u32 v3, v8, s42
	v_mul_lo_u32 v4, v6, s53
	s_add_u32 s2, s2, 48
	v_sub_u32_e32 v3, v5, v3
	v_sub_u32_e32 v4, v8, v4
	s_addc_u32 s3, s3, 0
	v_mul_lo_u32 v5, v3, s50
	v_mul_lo_u32 v7, v3, s51
	;; [unrolled: 1-line block ×6, first 2 shown]
	s_cmp_eq_u32 s20, s72
	v_add3_u32 v2, v5, v2, v8
	v_add3_u32 v4, v3, v1, v4
	;; [unrolled: 1-line block ×3, first 2 shown]
	s_cbranch_scc0 .LBB5_62
; %bb.63:
	v_mov_b32_e32 v1, v4
	s_and_b32 s36, s71, 3
	s_cmp_eq_u32 s36, 0
	s_cbranch_scc0 .LBB5_66
	s_branch .LBB5_68
.LBB5_64:
                                        ; implicit-def: $vgpr4
                                        ; implicit-def: $vgpr0
                                        ; implicit-def: $vgpr2
	s_branch .LBB5_69
.LBB5_65:
	v_mov_b32_e32 v0, 0
	s_mov_b32 s20, 0
	v_mov_b32_e32 v1, v0
                                        ; implicit-def: $vgpr4
	v_mov_b32_e32 v6, v14
	v_mov_b32_e32 v2, v0
	s_and_b32 s36, s71, 3
	s_cmp_eq_u32 s36, 0
	s_cbranch_scc1 .LBB5_68
.LBB5_66:
	s_mul_i32 s2, s20, 12
	s_add_u32 s2, s27, s2
	s_addc_u32 s3, s33, 0
	s_add_u32 s2, s2, 4
	s_addc_u32 s3, s3, 0
.LBB5_67:                               ; =>This Inner Loop Header: Depth=1
	s_load_dwordx2 s[38:39], s[2:3], 0x0
	s_load_dword s20, s[2:3], 0x8
	s_load_dwordx2 s[40:41], s[2:3], 0xc0
	s_load_dword s37, s[2:3], 0xc8
	v_mov_b32_e32 v4, v1
	s_waitcnt lgkmcnt(0)
	v_mul_hi_u32 v1, s39, v6
	v_add_u32_e32 v1, v6, v1
	v_lshrrev_b32_e32 v1, s20, v1
	v_mul_lo_u32 v3, v1, s38
	s_add_u32 s2, s2, 12
	v_sub_u32_e32 v7, v6, v3
	s_addc_u32 s3, s3, 0
	s_add_i32 s36, s36, -1
	v_mov_b32_e32 v6, v1
	v_mad_u64_u32 v[4:5], s[38:39], v7, s37, v[4:5]
	v_mad_u64_u32 v[0:1], s[38:39], v7, s41, v[0:1]
	s_cmp_lg_u32 s36, 0
	v_mad_u64_u32 v[2:3], s[38:39], v7, s40, v[2:3]
	v_mov_b32_e32 v1, v4
	s_cbranch_scc1 .LBB5_67
.LBB5_68:
	s_cbranch_execnz .LBB5_71
.LBB5_69:
	v_mul_hi_u32 v0, s22, v14
	v_add_u32_e32 v0, v14, v0
	v_lshrrev_b32_e32 v1, s23, v0
	v_mul_lo_u32 v0, v1, s21
	v_sub_u32_e32 v0, v14, v0
	v_mul_lo_u32 v2, v0, s28
	v_mul_lo_u32 v4, v0, s30
	s_andn2_b64 vcc, exec, s[60:61]
	v_mul_lo_u32 v0, v0, s29
	s_cbranch_vccnz .LBB5_71
; %bb.70:
	v_mul_hi_u32 v3, s25, v1
	v_add_u32_e32 v3, v1, v3
	v_lshrrev_b32_e32 v3, s26, v3
	v_mul_lo_u32 v3, v3, s24
	v_sub_u32_e32 v5, v1, v3
	v_mad_u64_u32 v[2:3], s[2:3], v5, s31, v[2:3]
	v_mad_u64_u32 v[0:1], s[2:3], v5, s34, v[0:1]
	;; [unrolled: 1-line block ×3, first 2 shown]
.LBB5_71:
	global_load_dwordx2 v[4:5], v4, s[8:9]
	v_mov_b64_e32 v[6:7], 0
	s_waitcnt vmcnt(0)
	v_cmp_lt_i64_e32 vcc, s[10:11], v[4:5]
	s_and_saveexec_b64 s[36:37], vcc
	s_cbranch_execz .LBB5_77
; %bb.72:
	v_mov_b32_e32 v1, s11
	v_subrev_co_u32_e32 v8, vcc, s10, v4
	v_mov_b32_e32 v10, 0
	s_nop 0
	v_subb_co_u32_e32 v9, vcc, v5, v1, vcc
	v_or_b32_e32 v11, s13, v9
	v_cmp_ne_u64_e32 vcc, 0, v[10:11]
                                        ; implicit-def: $vgpr6_vgpr7
	s_and_saveexec_b64 s[2:3], vcc
	s_xor_b64 s[38:39], exec, s[2:3]
	s_cbranch_execz .LBB5_74
; %bb.73:
	s_ashr_i32 s40, s13, 31
	s_add_u32 s2, s12, s40
	s_mov_b32 s41, s40
	s_addc_u32 s3, s13, s40
	s_xor_b64 s[42:43], s[2:3], s[40:41]
	v_cvt_f32_u32_e32 v1, s42
	v_cvt_f32_u32_e32 v3, s43
	s_sub_u32 s20, 0, s42
	s_subb_u32 s41, 0, s43
	v_ashrrev_i32_e32 v6, 31, v9
	v_fmamk_f32 v1, v3, 0x4f800000, v1
	v_rcp_f32_e32 v1, v1
	v_mov_b32_e32 v7, v6
	v_lshl_add_u64 v[8:9], v[8:9], 0, v[6:7]
	v_mov_b32_e32 v13, v10
	v_mul_f32_e32 v1, 0x5f7ffffc, v1
	v_mul_f32_e32 v3, 0x2f800000, v1
	v_trunc_f32_e32 v3, v3
	v_fmamk_f32 v1, v3, 0xcf800000, v1
	v_cvt_u32_f32_e32 v3, v3
	v_cvt_u32_f32_e32 v1, v1
	v_readfirstlane_b32 s44, v3
	v_readfirstlane_b32 s2, v1
	s_mul_i32 s3, s20, s44
	s_mul_hi_u32 s46, s20, s2
	s_mul_i32 s45, s41, s2
	s_add_i32 s3, s46, s3
	s_add_i32 s3, s3, s45
	s_mul_i32 s47, s20, s2
	s_mul_i32 s46, s2, s3
	s_mul_hi_u32 s48, s2, s47
	s_mul_hi_u32 s45, s2, s3
	s_add_u32 s46, s48, s46
	s_addc_u32 s45, 0, s45
	s_mul_hi_u32 s49, s44, s47
	s_mul_i32 s47, s44, s47
	s_add_u32 s46, s46, s47
	s_mul_hi_u32 s48, s44, s3
	s_addc_u32 s45, s45, s49
	s_addc_u32 s46, s48, 0
	s_mul_i32 s3, s44, s3
	s_add_u32 s3, s45, s3
	s_addc_u32 s45, 0, s46
	s_add_u32 s46, s2, s3
	s_cselect_b64 s[2:3], -1, 0
	s_cmp_lg_u64 s[2:3], 0
	s_addc_u32 s44, s44, s45
	s_mul_i32 s2, s20, s44
	s_mul_hi_u32 s3, s20, s46
	s_add_i32 s2, s3, s2
	s_mul_i32 s41, s41, s46
	s_add_i32 s2, s2, s41
	s_mul_i32 s20, s20, s46
	s_mul_hi_u32 s41, s44, s20
	s_mul_i32 s45, s44, s20
	s_mul_i32 s48, s46, s2
	s_mul_hi_u32 s20, s46, s20
	s_mul_hi_u32 s47, s46, s2
	s_add_u32 s20, s20, s48
	s_addc_u32 s47, 0, s47
	s_add_u32 s20, s20, s45
	s_mul_hi_u32 s3, s44, s2
	s_addc_u32 s20, s47, s41
	s_addc_u32 s3, s3, 0
	s_mul_i32 s2, s44, s2
	s_add_u32 s2, s20, s2
	s_addc_u32 s20, 0, s3
	s_add_u32 s41, s46, s2
	s_cselect_b64 s[2:3], -1, 0
	s_cmp_lg_u64 s[2:3], 0
	s_addc_u32 s20, s44, s20
	v_xor_b32_e32 v3, v8, v6
	v_xor_b32_e32 v1, v9, v6
	v_mad_u64_u32 v[8:9], s[2:3], v3, s20, 0
	v_mul_hi_u32 v12, v3, s41
	v_lshl_add_u64 v[8:9], v[12:13], 0, v[8:9]
	v_mad_u64_u32 v[16:17], s[2:3], v1, s41, 0
	v_add_co_u32_e32 v7, vcc, v8, v16
	v_mad_u64_u32 v[12:13], s[2:3], v1, s20, 0
	s_nop 0
	v_addc_co_u32_e32 v8, vcc, v9, v17, vcc
	v_mov_b32_e32 v9, v10
	s_nop 0
	v_addc_co_u32_e32 v13, vcc, 0, v13, vcc
	v_lshl_add_u64 v[8:9], v[8:9], 0, v[12:13]
	v_mul_lo_u32 v7, s43, v8
	v_mul_lo_u32 v12, s42, v9
	v_mad_u64_u32 v[10:11], s[2:3], s42, v8, 0
	v_add3_u32 v7, v11, v12, v7
	v_sub_u32_e32 v11, v1, v7
	v_mov_b32_e32 v12, s43
	v_sub_co_u32_e32 v3, vcc, v3, v10
	s_nop 1
	v_subb_co_u32_e64 v10, s[2:3], v11, v12, vcc
	v_subrev_co_u32_e64 v11, s[2:3], s42, v3
	v_subb_co_u32_e32 v1, vcc, v1, v7, vcc
	s_nop 0
	v_subbrev_co_u32_e64 v10, s[2:3], 0, v10, s[2:3]
	v_cmp_le_u32_e64 s[2:3], s43, v10
	v_cmp_le_u32_e32 vcc, s43, v1
	s_nop 0
	v_cndmask_b32_e64 v12, 0, -1, s[2:3]
	v_cmp_le_u32_e64 s[2:3], s42, v11
	v_cndmask_b32_e64 v7, 0, -1, vcc
	v_cmp_le_u32_e32 vcc, s42, v3
	v_cndmask_b32_e64 v11, 0, -1, s[2:3]
	v_cmp_eq_u32_e64 s[2:3], s43, v10
	v_cndmask_b32_e64 v3, 0, -1, vcc
	v_cmp_eq_u32_e32 vcc, s43, v1
	v_cndmask_b32_e64 v15, v12, v11, s[2:3]
	v_lshl_add_u64 v[10:11], v[8:9], 0, 2
	v_lshl_add_u64 v[12:13], v[8:9], 0, 1
	v_cmp_ne_u32_e64 s[2:3], 0, v15
	v_cndmask_b32_e32 v1, v7, v3, vcc
	v_cmp_ne_u32_e32 vcc, 0, v1
	v_cndmask_b32_e64 v3, v12, v10, s[2:3]
	v_cndmask_b32_e64 v11, v13, v11, s[2:3]
	v_cndmask_b32_e32 v3, v8, v3, vcc
	v_xor_b32_e32 v7, s40, v6
	v_cndmask_b32_e32 v1, v9, v11, vcc
	v_xor_b32_e32 v3, v3, v7
	v_xor_b32_e32 v1, v1, v7
	v_sub_co_u32_e32 v6, vcc, v3, v7
                                        ; implicit-def: $vgpr8
	s_nop 1
	v_subb_co_u32_e32 v7, vcc, v1, v7, vcc
.LBB5_74:
	s_andn2_saveexec_b64 s[2:3], s[38:39]
	s_cbranch_execz .LBB5_76
; %bb.75:
	v_cvt_f32_u32_e32 v1, s12
	s_sub_i32 s20, 0, s12
	v_rcp_iflag_f32_e32 v1, v1
	s_nop 0
	v_mul_f32_e32 v1, 0x4f7ffffe, v1
	v_cvt_u32_f32_e32 v1, v1
	v_mul_lo_u32 v3, s20, v1
	v_mul_hi_u32 v3, v1, v3
	v_add_u32_e32 v1, v1, v3
	v_mul_hi_u32 v1, v8, v1
	v_mul_lo_u32 v3, v1, s12
	v_sub_u32_e32 v3, v8, v3
	v_add_u32_e32 v6, 1, v1
	v_subrev_u32_e32 v7, s12, v3
	v_cmp_le_u32_e32 vcc, s12, v3
	s_nop 1
	v_cndmask_b32_e32 v3, v3, v7, vcc
	v_cndmask_b32_e32 v1, v1, v6, vcc
	v_add_u32_e32 v6, 1, v1
	v_cmp_le_u32_e32 vcc, s12, v3
	v_mov_b32_e32 v7, 0
	s_nop 0
	v_cndmask_b32_e32 v6, v1, v6, vcc
.LBB5_76:
	s_or_b64 exec, exec, s[2:3]
.LBB5_77:
	s_or_b64 exec, exec, s[36:37]
	v_or_b32_e32 v9, s13, v5
	v_mov_b32_e32 v8, 0
	v_cmp_ne_u64_e32 vcc, 0, v[8:9]
                                        ; implicit-def: $vgpr10_vgpr11
	s_and_saveexec_b64 s[2:3], vcc
	s_xor_b64 s[36:37], exec, s[2:3]
	s_cbranch_execz .LBB5_79
; %bb.78:
	s_ashr_i32 s38, s13, 31
	s_add_u32 s2, s12, s38
	s_mov_b32 s39, s38
	s_addc_u32 s3, s13, s38
	s_xor_b64 s[40:41], s[2:3], s[38:39]
	v_cvt_f32_u32_e32 v1, s40
	v_cvt_f32_u32_e32 v3, s41
	s_sub_u32 s20, 0, s40
	s_subb_u32 s39, 0, s41
	v_ashrrev_i32_e32 v10, 31, v5
	v_fmamk_f32 v1, v3, 0x4f800000, v1
	v_rcp_f32_e32 v1, v1
	v_mov_b32_e32 v11, v10
	v_lshl_add_u64 v[12:13], v[4:5], 0, v[10:11]
	v_mov_b32_e32 v17, v8
	v_mul_f32_e32 v1, 0x5f7ffffc, v1
	v_mul_f32_e32 v3, 0x2f800000, v1
	v_trunc_f32_e32 v3, v3
	v_fmamk_f32 v1, v3, 0xcf800000, v1
	v_cvt_u32_f32_e32 v3, v3
	v_cvt_u32_f32_e32 v1, v1
	v_readfirstlane_b32 s42, v3
	v_readfirstlane_b32 s2, v1
	s_mul_i32 s3, s20, s42
	s_mul_hi_u32 s44, s20, s2
	s_mul_i32 s43, s39, s2
	s_add_i32 s3, s44, s3
	s_add_i32 s3, s3, s43
	s_mul_i32 s45, s20, s2
	s_mul_i32 s44, s2, s3
	s_mul_hi_u32 s46, s2, s45
	s_mul_hi_u32 s43, s2, s3
	s_add_u32 s44, s46, s44
	s_addc_u32 s43, 0, s43
	s_mul_hi_u32 s47, s42, s45
	s_mul_i32 s45, s42, s45
	s_add_u32 s44, s44, s45
	s_mul_hi_u32 s46, s42, s3
	s_addc_u32 s43, s43, s47
	s_addc_u32 s44, s46, 0
	s_mul_i32 s3, s42, s3
	s_add_u32 s3, s43, s3
	s_addc_u32 s43, 0, s44
	s_add_u32 s44, s2, s3
	s_cselect_b64 s[2:3], -1, 0
	s_cmp_lg_u64 s[2:3], 0
	s_addc_u32 s42, s42, s43
	s_mul_i32 s2, s20, s42
	s_mul_hi_u32 s3, s20, s44
	s_add_i32 s2, s3, s2
	s_mul_i32 s39, s39, s44
	s_add_i32 s2, s2, s39
	s_mul_i32 s20, s20, s44
	s_mul_hi_u32 s39, s42, s20
	s_mul_i32 s43, s42, s20
	s_mul_i32 s46, s44, s2
	s_mul_hi_u32 s20, s44, s20
	s_mul_hi_u32 s45, s44, s2
	s_add_u32 s20, s20, s46
	s_addc_u32 s45, 0, s45
	s_add_u32 s20, s20, s43
	s_mul_hi_u32 s3, s42, s2
	s_addc_u32 s20, s45, s39
	s_addc_u32 s3, s3, 0
	s_mul_i32 s2, s42, s2
	s_add_u32 s2, s20, s2
	s_addc_u32 s20, 0, s3
	s_add_u32 s39, s44, s2
	s_cselect_b64 s[2:3], -1, 0
	s_cmp_lg_u64 s[2:3], 0
	s_addc_u32 s20, s42, s20
	v_xor_b32_e32 v3, v12, v10
	v_xor_b32_e32 v1, v13, v10
	v_mad_u64_u32 v[12:13], s[2:3], v3, s20, 0
	v_mul_hi_u32 v16, v3, s39
	v_lshl_add_u64 v[12:13], v[16:17], 0, v[12:13]
	v_mad_u64_u32 v[18:19], s[2:3], v1, s39, 0
	v_add_co_u32_e32 v9, vcc, v12, v18
	v_mad_u64_u32 v[16:17], s[2:3], v1, s20, 0
	s_nop 0
	v_addc_co_u32_e32 v12, vcc, v13, v19, vcc
	v_mov_b32_e32 v13, v8
	s_nop 0
	v_addc_co_u32_e32 v17, vcc, 0, v17, vcc
	v_lshl_add_u64 v[8:9], v[12:13], 0, v[16:17]
	v_mul_lo_u32 v11, s41, v8
	v_mul_lo_u32 v15, s40, v9
	v_mad_u64_u32 v[12:13], s[2:3], s40, v8, 0
	v_add3_u32 v11, v13, v15, v11
	v_sub_u32_e32 v13, v1, v11
	v_mov_b32_e32 v15, s41
	v_sub_co_u32_e32 v3, vcc, v3, v12
	v_lshl_add_u64 v[16:17], v[8:9], 0, 1
	s_nop 0
	v_subb_co_u32_e64 v12, s[2:3], v13, v15, vcc
	v_subrev_co_u32_e64 v13, s[2:3], s40, v3
	v_subb_co_u32_e32 v1, vcc, v1, v11, vcc
	s_nop 0
	v_subbrev_co_u32_e64 v12, s[2:3], 0, v12, s[2:3]
	v_cmp_le_u32_e64 s[2:3], s41, v12
	v_cmp_le_u32_e32 vcc, s41, v1
	s_nop 0
	v_cndmask_b32_e64 v15, 0, -1, s[2:3]
	v_cmp_le_u32_e64 s[2:3], s40, v13
	v_cndmask_b32_e64 v11, 0, -1, vcc
	v_cmp_le_u32_e32 vcc, s40, v3
	v_cndmask_b32_e64 v13, 0, -1, s[2:3]
	v_cmp_eq_u32_e64 s[2:3], s41, v12
	v_cndmask_b32_e64 v3, 0, -1, vcc
	v_cmp_eq_u32_e32 vcc, s41, v1
	v_cndmask_b32_e64 v15, v15, v13, s[2:3]
	v_lshl_add_u64 v[12:13], v[8:9], 0, 2
	v_cmp_ne_u32_e64 s[2:3], 0, v15
	v_cndmask_b32_e32 v1, v11, v3, vcc
	v_cmp_ne_u32_e32 vcc, 0, v1
	v_cndmask_b32_e64 v3, v16, v12, s[2:3]
	v_cndmask_b32_e64 v13, v17, v13, s[2:3]
	v_cndmask_b32_e32 v3, v8, v3, vcc
	v_xor_b32_e32 v8, s38, v10
	v_cndmask_b32_e32 v1, v9, v13, vcc
	v_xor_b32_e32 v3, v3, v8
	v_xor_b32_e32 v1, v1, v8
	v_sub_co_u32_e32 v10, vcc, v3, v8
	s_nop 1
	v_subb_co_u32_e32 v11, vcc, v1, v8, vcc
.LBB5_79:
	s_andn2_saveexec_b64 s[2:3], s[36:37]
	s_cbranch_execz .LBB5_81
; %bb.80:
	v_cvt_f32_u32_e32 v1, s12
	s_sub_i32 s20, 0, s12
	v_mov_b32_e32 v11, 0
	v_rcp_iflag_f32_e32 v1, v1
	s_nop 0
	v_mul_f32_e32 v1, 0x4f7ffffe, v1
	v_cvt_u32_f32_e32 v1, v1
	v_mul_lo_u32 v3, s20, v1
	v_mul_hi_u32 v3, v1, v3
	v_add_u32_e32 v1, v1, v3
	v_mul_hi_u32 v1, v4, v1
	v_mul_lo_u32 v3, v1, s12
	v_sub_u32_e32 v3, v4, v3
	v_add_u32_e32 v8, 1, v1
	v_subrev_u32_e32 v9, s12, v3
	v_cmp_le_u32_e32 vcc, s12, v3
	s_nop 1
	v_cndmask_b32_e32 v3, v3, v9, vcc
	v_cndmask_b32_e32 v1, v1, v8, vcc
	v_add_u32_e32 v8, 1, v1
	v_cmp_le_u32_e32 vcc, s12, v3
	s_nop 1
	v_cndmask_b32_e32 v10, v1, v8, vcc
.LBB5_81:
	s_or_b64 exec, exec, s[2:3]
	v_mul_lo_u32 v1, v7, s12
	v_mul_lo_u32 v3, v6, s13
	v_mad_u64_u32 v[8:9], s[2:3], v6, s12, 0
	v_add3_u32 v9, v9, v3, v1
	v_cmp_gt_i64_e32 vcc, v[8:9], v[4:5]
	v_mov_b64_e32 v[8:9], s[10:11]
	v_mad_u64_u32 v[8:9], s[2:3], v6, s12, v[8:9]
	v_add3_u32 v9, v1, v9, v3
	v_cmp_ge_i64_e64 s[2:3], v[4:5], v[8:9]
	s_or_b64 s[2:3], vcc, s[2:3]
	v_mov_b32_e32 v1, s15
	v_cndmask_b32_e64 v8, 0, 1, s[2:3]
	s_mov_b32 s2, 0
	v_mov_b32_e32 v9, s2
	v_cmp_gt_i64_e32 vcc, s[14:15], v[10:11]
	v_lshl_add_u64 v[12:13], v[6:7], 0, v[8:9]
	s_nop 0
	v_cndmask_b32_e32 v7, v1, v11, vcc
	v_mov_b32_e32 v1, s14
	v_cndmask_b32_e32 v6, v1, v10, vcc
	v_cmp_le_i64_e32 vcc, v[12:13], v[6:7]
	s_and_saveexec_b64 s[2:3], vcc
	s_cbranch_execz .LBB5_84
; %bb.82:
	global_load_dwordx2 v[8:9], v2, s[4:5]
	v_mul_lo_u32 v15, s13, v12
	v_mul_lo_u32 v18, s12, v13
	v_mad_u64_u32 v[16:17], s[36:37], s12, v12, 0
	v_add3_u32 v15, v17, v18, v15
	v_sub_co_u32_e32 v4, vcc, v4, v16
	v_mov_b32_e32 v3, 0
	s_nop 0
	v_subb_co_u32_e32 v5, vcc, v5, v15, vcc
	v_mul_lo_u32 v15, s19, v4
	v_mul_lo_u32 v16, s18, v5
	v_mad_u64_u32 v[4:5], s[36:37], s18, v4, 0
	v_lshl_add_u64 v[10:11], s[4:5], 0, v[2:3]
	v_mov_b32_e32 v1, v3
	v_lshl_add_u64 v[2:3], v[12:13], 0, -1
	v_add3_u32 v5, v5, v16, v15
	v_mul_lo_u32 v15, s17, v12
	v_mul_lo_u32 v16, s16, v13
	v_mad_u64_u32 v[12:13], s[36:37], s16, v12, 0
	s_mul_i32 s20, s12, s19
	s_mul_hi_u32 s38, s12, s18
	v_add3_u32 v13, v13, v16, v15
	s_add_i32 s20, s38, s20
	s_mul_i32 s38, s13, s18
	v_lshlrev_b64 v[12:13], 3, v[12:13]
	s_add_i32 s39, s20, s38
	s_mul_i32 s38, s12, s18
	v_lshl_add_u64 v[4:5], v[4:5], 3, v[12:13]
	s_lshl_b64 s[36:37], s[16:17], 3
	s_lshl_b64 s[38:39], s[38:39], 3
	v_lshl_add_u64 v[0:1], v[4:5], 0, v[0:1]
	s_sub_u32 s36, s36, s38
	v_lshl_add_u64 v[0:1], s[6:7], 0, v[0:1]
	s_subb_u32 s37, s37, s39
	s_mov_b64 s[38:39], 0
.LBB5_83:                               ; =>This Inner Loop Header: Depth=1
	global_load_dwordx2 v[4:5], v[0:1], off
	v_lshl_add_u64 v[2:3], v[2:3], 0, 1
	v_cmp_ge_i64_e32 vcc, v[2:3], v[6:7]
	v_lshl_add_u64 v[0:1], v[0:1], 0, s[36:37]
	s_or_b64 s[38:39], vcc, s[38:39]
	s_waitcnt vmcnt(0)
	v_add_f64 v[8:9], v[8:9], v[4:5]
	global_store_dwordx2 v[10:11], v[8:9], off
	s_andn2_b64 exec, exec, s[38:39]
	s_cbranch_execnz .LBB5_83
.LBB5_84:
	s_or_b64 exec, exec, s[2:3]
	v_add_u32_e32 v14, 0x100, v14
	s_or_b64 exec, exec, s[66:67]
	v_cmp_gt_i32_e32 vcc, s70, v14
	s_and_saveexec_b64 s[2:3], vcc
	s_cbranch_execz .LBB5_111
.LBB5_85:
	s_and_b64 vcc, exec, s[0:1]
	s_cbranch_vccnz .LBB5_91
; %bb.86:
	v_mov_b32_e32 v4, 0
	s_andn2_b64 vcc, exec, s[64:65]
	v_mov_b32_e32 v0, 0
	v_mov_b32_e32 v2, 0
	s_cbranch_vccnz .LBB5_95
; %bb.87:
	s_add_i32 s69, s69, 1
	s_cmp_eq_u32 s68, 2
	s_cbranch_scc1 .LBB5_92
; %bb.88:
	s_and_b32 s20, s69, 28
	v_mov_b32_e32 v2, 0
	s_mov_b32 s56, 0
	v_mov_b32_e32 v6, v14
	v_mov_b32_e32 v0, 0
	;; [unrolled: 1-line block ×3, first 2 shown]
.LBB5_89:                               ; =>This Inner Loop Header: Depth=1
	s_load_dwordx8 s[36:43], s[62:63], 0x0
	s_load_dwordx4 s[0:3], s[62:63], 0x20
	s_load_dwordx4 s[52:55], s[62:63], 0xe0
	s_load_dwordx8 s[44:51], s[62:63], 0xc0
	s_add_i32 s56, s56, 4
	s_waitcnt lgkmcnt(0)
	v_mul_hi_u32 v1, s37, v6
	v_add_u32_e32 v1, v6, v1
	v_lshrrev_b32_e32 v1, s38, v1
	v_mul_hi_u32 v5, s40, v1
	v_add_u32_e32 v5, v1, v5
	v_lshrrev_b32_e32 v5, s41, v5
	v_mul_lo_u32 v3, v1, s36
	v_mul_lo_u32 v8, v5, s39
	v_mul_hi_u32 v9, s43, v5
	v_sub_u32_e32 v3, v6, v3
	v_sub_u32_e32 v1, v1, v8
	v_add_u32_e32 v8, v5, v9
	v_mul_lo_u32 v6, v3, s44
	v_mul_lo_u32 v7, v3, s46
	;; [unrolled: 1-line block ×6, first 2 shown]
	v_lshrrev_b32_e32 v8, s0, v8
	v_add3_u32 v0, v3, v0, v1
	v_add3_u32 v1, v7, v4, v10
	v_mul_hi_u32 v4, s2, v8
	v_add_u32_e32 v4, v8, v4
	v_add3_u32 v2, v6, v2, v9
	v_lshrrev_b32_e32 v6, s3, v4
	v_mul_lo_u32 v3, v8, s42
	v_mul_lo_u32 v4, v6, s1
	s_add_u32 s62, s62, 48
	v_sub_u32_e32 v3, v5, v3
	v_sub_u32_e32 v4, v8, v4
	s_addc_u32 s63, s63, 0
	v_mul_lo_u32 v5, v3, s50
	v_mul_lo_u32 v7, v3, s51
	v_mul_lo_u32 v3, v3, s52
	v_mul_lo_u32 v8, v4, s53
	v_mul_lo_u32 v9, v4, s54
	v_mul_lo_u32 v4, v4, s55
	s_cmp_eq_u32 s20, s56
	v_add3_u32 v2, v5, v2, v8
	v_add3_u32 v4, v3, v1, v4
	;; [unrolled: 1-line block ×3, first 2 shown]
	s_cbranch_scc0 .LBB5_89
; %bb.90:
	v_mov_b32_e32 v1, v4
	s_and_b32 s2, s69, 3
	s_cmp_eq_u32 s2, 0
	s_cbranch_scc0 .LBB5_93
	s_branch .LBB5_95
.LBB5_91:
                                        ; implicit-def: $vgpr4
                                        ; implicit-def: $vgpr0
                                        ; implicit-def: $vgpr2
	s_branch .LBB5_96
.LBB5_92:
	v_mov_b32_e32 v0, 0
	s_mov_b32 s20, 0
	v_mov_b32_e32 v1, v0
                                        ; implicit-def: $vgpr4
	v_mov_b32_e32 v6, v14
	v_mov_b32_e32 v2, v0
	s_and_b32 s2, s69, 3
	s_cmp_eq_u32 s2, 0
	s_cbranch_scc1 .LBB5_95
.LBB5_93:
	s_mul_i32 s0, s20, 12
	s_add_u32 s0, s27, s0
	s_addc_u32 s1, s33, 0
	s_add_u32 s0, s0, 4
	s_addc_u32 s1, s1, 0
.LBB5_94:                               ; =>This Inner Loop Header: Depth=1
	s_load_dwordx2 s[36:37], s[0:1], 0x0
	s_load_dword s3, s[0:1], 0x8
	s_load_dwordx2 s[38:39], s[0:1], 0xc0
	s_load_dword s20, s[0:1], 0xc8
	v_mov_b32_e32 v4, v1
	s_waitcnt lgkmcnt(0)
	v_mul_hi_u32 v1, s37, v6
	v_add_u32_e32 v1, v6, v1
	v_lshrrev_b32_e32 v1, s3, v1
	v_mul_lo_u32 v3, v1, s36
	s_add_u32 s0, s0, 12
	v_sub_u32_e32 v7, v6, v3
	s_addc_u32 s1, s1, 0
	s_add_i32 s2, s2, -1
	v_mov_b32_e32 v6, v1
	v_mad_u64_u32 v[4:5], s[36:37], v7, s20, v[4:5]
	v_mad_u64_u32 v[0:1], s[36:37], v7, s39, v[0:1]
	s_cmp_lg_u32 s2, 0
	v_mad_u64_u32 v[2:3], s[36:37], v7, s38, v[2:3]
	v_mov_b32_e32 v1, v4
	s_cbranch_scc1 .LBB5_94
.LBB5_95:
	s_cbranch_execnz .LBB5_98
.LBB5_96:
	v_mul_hi_u32 v0, s22, v14
	v_add_u32_e32 v0, v14, v0
	v_lshrrev_b32_e32 v1, s23, v0
	v_mul_lo_u32 v0, v1, s21
	v_sub_u32_e32 v0, v14, v0
	v_mul_lo_u32 v2, v0, s28
	v_mul_lo_u32 v4, v0, s30
	s_andn2_b64 vcc, exec, s[60:61]
	v_mul_lo_u32 v0, v0, s29
	s_cbranch_vccnz .LBB5_98
; %bb.97:
	v_mul_hi_u32 v3, s25, v1
	v_add_u32_e32 v3, v1, v3
	v_lshrrev_b32_e32 v3, s26, v3
	v_mul_lo_u32 v3, v3, s24
	v_sub_u32_e32 v5, v1, v3
	v_mad_u64_u32 v[2:3], s[0:1], v5, s31, v[2:3]
	v_mad_u64_u32 v[0:1], s[0:1], v5, s34, v[0:1]
	;; [unrolled: 1-line block ×3, first 2 shown]
.LBB5_98:
	global_load_dwordx2 v[4:5], v4, s[8:9]
	v_mov_b64_e32 v[6:7], 0
	s_waitcnt vmcnt(0)
	v_cmp_lt_i64_e32 vcc, s[10:11], v[4:5]
	s_and_saveexec_b64 s[2:3], vcc
	s_cbranch_execz .LBB5_104
; %bb.99:
	v_mov_b32_e32 v1, s11
	v_subrev_co_u32_e32 v8, vcc, s10, v4
	v_mov_b32_e32 v10, 0
	s_nop 0
	v_subb_co_u32_e32 v9, vcc, v5, v1, vcc
	v_or_b32_e32 v11, s13, v9
	v_cmp_ne_u64_e32 vcc, 0, v[10:11]
                                        ; implicit-def: $vgpr6_vgpr7
	s_and_saveexec_b64 s[0:1], vcc
	s_xor_b64 s[8:9], exec, s[0:1]
	s_cbranch_execz .LBB5_101
; %bb.100:
	s_ashr_i32 s20, s13, 31
	s_add_u32 s0, s12, s20
	s_mov_b32 s21, s20
	s_addc_u32 s1, s13, s20
	s_xor_b64 s[22:23], s[0:1], s[20:21]
	v_cvt_f32_u32_e32 v1, s22
	v_cvt_f32_u32_e32 v3, s23
	s_sub_u32 s21, 0, s22
	s_subb_u32 s24, 0, s23
	v_ashrrev_i32_e32 v6, 31, v9
	v_fmamk_f32 v1, v3, 0x4f800000, v1
	v_rcp_f32_e32 v1, v1
	v_mov_b32_e32 v7, v6
	v_lshl_add_u64 v[8:9], v[8:9], 0, v[6:7]
	v_mov_b32_e32 v13, v10
	v_mul_f32_e32 v1, 0x5f7ffffc, v1
	v_mul_f32_e32 v3, 0x2f800000, v1
	v_trunc_f32_e32 v3, v3
	v_fmamk_f32 v1, v3, 0xcf800000, v1
	v_cvt_u32_f32_e32 v3, v3
	v_cvt_u32_f32_e32 v1, v1
	v_readfirstlane_b32 s25, v3
	v_readfirstlane_b32 s0, v1
	s_mul_i32 s1, s21, s25
	s_mul_hi_u32 s27, s21, s0
	s_mul_i32 s26, s24, s0
	s_add_i32 s1, s27, s1
	s_add_i32 s1, s1, s26
	s_mul_i32 s28, s21, s0
	s_mul_i32 s27, s0, s1
	s_mul_hi_u32 s29, s0, s28
	s_mul_hi_u32 s26, s0, s1
	s_add_u32 s27, s29, s27
	s_addc_u32 s26, 0, s26
	s_mul_hi_u32 s30, s25, s28
	s_mul_i32 s28, s25, s28
	s_add_u32 s27, s27, s28
	s_mul_hi_u32 s29, s25, s1
	s_addc_u32 s26, s26, s30
	s_addc_u32 s27, s29, 0
	s_mul_i32 s1, s25, s1
	s_add_u32 s1, s26, s1
	s_addc_u32 s26, 0, s27
	s_add_u32 s27, s0, s1
	s_cselect_b64 s[0:1], -1, 0
	s_cmp_lg_u64 s[0:1], 0
	s_addc_u32 s25, s25, s26
	s_mul_i32 s0, s21, s25
	s_mul_hi_u32 s1, s21, s27
	s_add_i32 s0, s1, s0
	s_mul_i32 s24, s24, s27
	s_add_i32 s0, s0, s24
	s_mul_i32 s21, s21, s27
	s_mul_hi_u32 s24, s25, s21
	s_mul_i32 s26, s25, s21
	s_mul_i32 s29, s27, s0
	s_mul_hi_u32 s21, s27, s21
	s_mul_hi_u32 s28, s27, s0
	s_add_u32 s21, s21, s29
	s_addc_u32 s28, 0, s28
	s_add_u32 s21, s21, s26
	s_mul_hi_u32 s1, s25, s0
	s_addc_u32 s21, s28, s24
	s_addc_u32 s1, s1, 0
	s_mul_i32 s0, s25, s0
	s_add_u32 s0, s21, s0
	s_addc_u32 s21, 0, s1
	s_add_u32 s24, s27, s0
	s_cselect_b64 s[0:1], -1, 0
	s_cmp_lg_u64 s[0:1], 0
	s_addc_u32 s21, s25, s21
	v_xor_b32_e32 v3, v8, v6
	v_xor_b32_e32 v1, v9, v6
	v_mad_u64_u32 v[8:9], s[0:1], v3, s21, 0
	v_mul_hi_u32 v12, v3, s24
	v_lshl_add_u64 v[8:9], v[12:13], 0, v[8:9]
	v_mad_u64_u32 v[14:15], s[0:1], v1, s24, 0
	v_add_co_u32_e32 v7, vcc, v8, v14
	v_mad_u64_u32 v[12:13], s[0:1], v1, s21, 0
	s_nop 0
	v_addc_co_u32_e32 v8, vcc, v9, v15, vcc
	v_mov_b32_e32 v9, v10
	s_nop 0
	v_addc_co_u32_e32 v13, vcc, 0, v13, vcc
	v_lshl_add_u64 v[8:9], v[8:9], 0, v[12:13]
	v_mul_lo_u32 v7, s23, v8
	v_mul_lo_u32 v12, s22, v9
	v_mad_u64_u32 v[10:11], s[0:1], s22, v8, 0
	v_add3_u32 v7, v11, v12, v7
	v_sub_u32_e32 v11, v1, v7
	v_mov_b32_e32 v12, s23
	v_sub_co_u32_e32 v3, vcc, v3, v10
	s_nop 1
	v_subb_co_u32_e64 v10, s[0:1], v11, v12, vcc
	v_subrev_co_u32_e64 v11, s[0:1], s22, v3
	v_subb_co_u32_e32 v1, vcc, v1, v7, vcc
	s_nop 0
	v_subbrev_co_u32_e64 v10, s[0:1], 0, v10, s[0:1]
	v_cmp_le_u32_e64 s[0:1], s23, v10
	v_cmp_le_u32_e32 vcc, s23, v1
	s_nop 0
	v_cndmask_b32_e64 v12, 0, -1, s[0:1]
	v_cmp_le_u32_e64 s[0:1], s22, v11
	v_cndmask_b32_e64 v7, 0, -1, vcc
	v_cmp_le_u32_e32 vcc, s22, v3
	v_cndmask_b32_e64 v11, 0, -1, s[0:1]
	v_cmp_eq_u32_e64 s[0:1], s23, v10
	v_cndmask_b32_e64 v3, 0, -1, vcc
	v_cmp_eq_u32_e32 vcc, s23, v1
	v_cndmask_b32_e64 v14, v12, v11, s[0:1]
	v_lshl_add_u64 v[10:11], v[8:9], 0, 2
	v_lshl_add_u64 v[12:13], v[8:9], 0, 1
	v_cmp_ne_u32_e64 s[0:1], 0, v14
	v_cndmask_b32_e32 v1, v7, v3, vcc
	v_cmp_ne_u32_e32 vcc, 0, v1
	v_cndmask_b32_e64 v3, v12, v10, s[0:1]
	v_cndmask_b32_e64 v11, v13, v11, s[0:1]
	v_cndmask_b32_e32 v3, v8, v3, vcc
	v_xor_b32_e32 v7, s20, v6
	v_cndmask_b32_e32 v1, v9, v11, vcc
	v_xor_b32_e32 v3, v3, v7
	v_xor_b32_e32 v1, v1, v7
	v_sub_co_u32_e32 v6, vcc, v3, v7
                                        ; implicit-def: $vgpr8
	s_nop 1
	v_subb_co_u32_e32 v7, vcc, v1, v7, vcc
.LBB5_101:
	s_andn2_saveexec_b64 s[0:1], s[8:9]
	s_cbranch_execz .LBB5_103
; %bb.102:
	v_cvt_f32_u32_e32 v1, s12
	s_sub_i32 s8, 0, s12
	v_rcp_iflag_f32_e32 v1, v1
	s_nop 0
	v_mul_f32_e32 v1, 0x4f7ffffe, v1
	v_cvt_u32_f32_e32 v1, v1
	v_mul_lo_u32 v3, s8, v1
	v_mul_hi_u32 v3, v1, v3
	v_add_u32_e32 v1, v1, v3
	v_mul_hi_u32 v1, v8, v1
	v_mul_lo_u32 v3, v1, s12
	v_sub_u32_e32 v3, v8, v3
	v_add_u32_e32 v6, 1, v1
	v_subrev_u32_e32 v7, s12, v3
	v_cmp_le_u32_e32 vcc, s12, v3
	s_nop 1
	v_cndmask_b32_e32 v3, v3, v7, vcc
	v_cndmask_b32_e32 v1, v1, v6, vcc
	v_add_u32_e32 v6, 1, v1
	v_cmp_le_u32_e32 vcc, s12, v3
	v_mov_b32_e32 v7, 0
	s_nop 0
	v_cndmask_b32_e32 v6, v1, v6, vcc
.LBB5_103:
	s_or_b64 exec, exec, s[0:1]
.LBB5_104:
	s_or_b64 exec, exec, s[2:3]
	v_or_b32_e32 v9, s13, v5
	v_mov_b32_e32 v8, 0
	v_cmp_ne_u64_e32 vcc, 0, v[8:9]
                                        ; implicit-def: $vgpr10_vgpr11
	s_and_saveexec_b64 s[0:1], vcc
	s_xor_b64 s[2:3], exec, s[0:1]
	s_cbranch_execz .LBB5_106
; %bb.105:
	s_ashr_i32 s8, s13, 31
	s_add_u32 s0, s12, s8
	s_mov_b32 s9, s8
	s_addc_u32 s1, s13, s8
	s_xor_b64 s[20:21], s[0:1], s[8:9]
	v_cvt_f32_u32_e32 v1, s20
	v_cvt_f32_u32_e32 v3, s21
	s_sub_u32 s9, 0, s20
	s_subb_u32 s22, 0, s21
	v_ashrrev_i32_e32 v10, 31, v5
	v_fmamk_f32 v1, v3, 0x4f800000, v1
	v_rcp_f32_e32 v1, v1
	v_mov_b32_e32 v11, v10
	v_lshl_add_u64 v[12:13], v[4:5], 0, v[10:11]
	v_mov_b32_e32 v15, v8
	v_mul_f32_e32 v1, 0x5f7ffffc, v1
	v_mul_f32_e32 v3, 0x2f800000, v1
	v_trunc_f32_e32 v3, v3
	v_fmamk_f32 v1, v3, 0xcf800000, v1
	v_cvt_u32_f32_e32 v3, v3
	v_cvt_u32_f32_e32 v1, v1
	v_readfirstlane_b32 s23, v3
	v_readfirstlane_b32 s0, v1
	s_mul_i32 s1, s9, s23
	s_mul_hi_u32 s25, s9, s0
	s_mul_i32 s24, s22, s0
	s_add_i32 s1, s25, s1
	s_add_i32 s1, s1, s24
	s_mul_i32 s26, s9, s0
	s_mul_i32 s25, s0, s1
	s_mul_hi_u32 s27, s0, s26
	s_mul_hi_u32 s24, s0, s1
	s_add_u32 s25, s27, s25
	s_addc_u32 s24, 0, s24
	s_mul_hi_u32 s28, s23, s26
	s_mul_i32 s26, s23, s26
	s_add_u32 s25, s25, s26
	s_mul_hi_u32 s27, s23, s1
	s_addc_u32 s24, s24, s28
	s_addc_u32 s25, s27, 0
	s_mul_i32 s1, s23, s1
	s_add_u32 s1, s24, s1
	s_addc_u32 s24, 0, s25
	s_add_u32 s25, s0, s1
	s_cselect_b64 s[0:1], -1, 0
	s_cmp_lg_u64 s[0:1], 0
	s_addc_u32 s23, s23, s24
	s_mul_i32 s0, s9, s23
	s_mul_hi_u32 s1, s9, s25
	s_add_i32 s0, s1, s0
	s_mul_i32 s22, s22, s25
	s_add_i32 s0, s0, s22
	s_mul_i32 s9, s9, s25
	s_mul_hi_u32 s22, s23, s9
	s_mul_i32 s24, s23, s9
	s_mul_i32 s27, s25, s0
	s_mul_hi_u32 s9, s25, s9
	s_mul_hi_u32 s26, s25, s0
	s_add_u32 s9, s9, s27
	s_addc_u32 s26, 0, s26
	s_add_u32 s9, s9, s24
	s_mul_hi_u32 s1, s23, s0
	s_addc_u32 s9, s26, s22
	s_addc_u32 s1, s1, 0
	s_mul_i32 s0, s23, s0
	s_add_u32 s0, s9, s0
	s_addc_u32 s9, 0, s1
	s_add_u32 s22, s25, s0
	s_cselect_b64 s[0:1], -1, 0
	s_cmp_lg_u64 s[0:1], 0
	s_addc_u32 s9, s23, s9
	v_xor_b32_e32 v3, v12, v10
	v_xor_b32_e32 v1, v13, v10
	v_mad_u64_u32 v[12:13], s[0:1], v3, s9, 0
	v_mul_hi_u32 v14, v3, s22
	v_lshl_add_u64 v[12:13], v[14:15], 0, v[12:13]
	v_mad_u64_u32 v[16:17], s[0:1], v1, s22, 0
	v_add_co_u32_e32 v9, vcc, v12, v16
	v_mad_u64_u32 v[14:15], s[0:1], v1, s9, 0
	s_nop 0
	v_addc_co_u32_e32 v12, vcc, v13, v17, vcc
	v_mov_b32_e32 v13, v8
	s_nop 0
	v_addc_co_u32_e32 v15, vcc, 0, v15, vcc
	v_lshl_add_u64 v[8:9], v[12:13], 0, v[14:15]
	v_mul_lo_u32 v11, s21, v8
	v_mul_lo_u32 v14, s20, v9
	v_mad_u64_u32 v[12:13], s[0:1], s20, v8, 0
	v_add3_u32 v11, v13, v14, v11
	v_sub_u32_e32 v13, v1, v11
	v_mov_b32_e32 v14, s21
	v_sub_co_u32_e32 v3, vcc, v3, v12
	s_nop 1
	v_subb_co_u32_e64 v12, s[0:1], v13, v14, vcc
	v_subrev_co_u32_e64 v13, s[0:1], s20, v3
	v_subb_co_u32_e32 v1, vcc, v1, v11, vcc
	s_nop 0
	v_subbrev_co_u32_e64 v12, s[0:1], 0, v12, s[0:1]
	v_cmp_le_u32_e64 s[0:1], s21, v12
	v_cmp_le_u32_e32 vcc, s21, v1
	s_nop 0
	v_cndmask_b32_e64 v14, 0, -1, s[0:1]
	v_cmp_le_u32_e64 s[0:1], s20, v13
	v_cndmask_b32_e64 v11, 0, -1, vcc
	v_cmp_le_u32_e32 vcc, s20, v3
	v_cndmask_b32_e64 v13, 0, -1, s[0:1]
	v_cmp_eq_u32_e64 s[0:1], s21, v12
	v_cndmask_b32_e64 v3, 0, -1, vcc
	v_cmp_eq_u32_e32 vcc, s21, v1
	v_cndmask_b32_e64 v16, v14, v13, s[0:1]
	v_lshl_add_u64 v[12:13], v[8:9], 0, 2
	v_lshl_add_u64 v[14:15], v[8:9], 0, 1
	v_cmp_ne_u32_e64 s[0:1], 0, v16
	v_cndmask_b32_e32 v1, v11, v3, vcc
	v_cmp_ne_u32_e32 vcc, 0, v1
	v_cndmask_b32_e64 v3, v14, v12, s[0:1]
	v_cndmask_b32_e64 v13, v15, v13, s[0:1]
	v_cndmask_b32_e32 v3, v8, v3, vcc
	v_xor_b32_e32 v8, s8, v10
	v_cndmask_b32_e32 v1, v9, v13, vcc
	v_xor_b32_e32 v3, v3, v8
	v_xor_b32_e32 v1, v1, v8
	v_sub_co_u32_e32 v10, vcc, v3, v8
	s_nop 1
	v_subb_co_u32_e32 v11, vcc, v1, v8, vcc
.LBB5_106:
	s_andn2_saveexec_b64 s[0:1], s[2:3]
	s_cbranch_execz .LBB5_108
; %bb.107:
	v_cvt_f32_u32_e32 v1, s12
	s_sub_i32 s2, 0, s12
	v_mov_b32_e32 v11, 0
	v_rcp_iflag_f32_e32 v1, v1
	s_nop 0
	v_mul_f32_e32 v1, 0x4f7ffffe, v1
	v_cvt_u32_f32_e32 v1, v1
	v_mul_lo_u32 v3, s2, v1
	v_mul_hi_u32 v3, v1, v3
	v_add_u32_e32 v1, v1, v3
	v_mul_hi_u32 v1, v4, v1
	v_mul_lo_u32 v3, v1, s12
	v_sub_u32_e32 v3, v4, v3
	v_add_u32_e32 v8, 1, v1
	v_subrev_u32_e32 v9, s12, v3
	v_cmp_le_u32_e32 vcc, s12, v3
	s_nop 1
	v_cndmask_b32_e32 v3, v3, v9, vcc
	v_cndmask_b32_e32 v1, v1, v8, vcc
	v_add_u32_e32 v8, 1, v1
	v_cmp_le_u32_e32 vcc, s12, v3
	s_nop 1
	v_cndmask_b32_e32 v10, v1, v8, vcc
.LBB5_108:
	s_or_b64 exec, exec, s[0:1]
	v_mul_lo_u32 v1, v7, s12
	v_mul_lo_u32 v3, v6, s13
	v_mad_u64_u32 v[8:9], s[0:1], v6, s12, 0
	v_add3_u32 v9, v9, v3, v1
	v_cmp_gt_i64_e32 vcc, v[8:9], v[4:5]
	v_mov_b64_e32 v[8:9], s[10:11]
	v_mad_u64_u32 v[8:9], s[0:1], v6, s12, v[8:9]
	v_add3_u32 v9, v1, v9, v3
	v_cmp_ge_i64_e64 s[0:1], v[4:5], v[8:9]
	s_or_b64 s[0:1], vcc, s[0:1]
	v_mov_b32_e32 v1, s15
	v_cndmask_b32_e64 v8, 0, 1, s[0:1]
	s_mov_b32 s0, 0
	v_mov_b32_e32 v9, s0
	v_cmp_gt_i64_e32 vcc, s[14:15], v[10:11]
	v_lshl_add_u64 v[12:13], v[6:7], 0, v[8:9]
	s_nop 0
	v_cndmask_b32_e32 v7, v1, v11, vcc
	v_mov_b32_e32 v1, s14
	v_cndmask_b32_e32 v6, v1, v10, vcc
	v_cmp_le_i64_e32 vcc, v[12:13], v[6:7]
	s_and_b64 exec, exec, vcc
	s_cbranch_execz .LBB5_111
; %bb.109:
	global_load_dwordx2 v[8:9], v2, s[4:5]
	v_mul_lo_u32 v16, s13, v12
	v_mul_lo_u32 v17, s12, v13
	v_mad_u64_u32 v[14:15], s[0:1], s12, v12, 0
	v_add3_u32 v15, v15, v17, v16
	v_sub_co_u32_e32 v4, vcc, v4, v14
	v_mov_b32_e32 v3, 0
	s_nop 0
	v_subb_co_u32_e32 v5, vcc, v5, v15, vcc
	v_mul_lo_u32 v14, s19, v4
	v_mul_lo_u32 v15, s18, v5
	v_mad_u64_u32 v[4:5], s[0:1], s18, v4, 0
	v_lshl_add_u64 v[10:11], s[4:5], 0, v[2:3]
	v_mov_b32_e32 v1, v3
	v_lshl_add_u64 v[2:3], v[12:13], 0, -1
	v_add3_u32 v5, v5, v15, v14
	v_mul_lo_u32 v14, s17, v12
	v_mul_lo_u32 v15, s16, v13
	v_mad_u64_u32 v[12:13], s[0:1], s16, v12, 0
	s_mul_i32 s2, s12, s19
	s_mul_hi_u32 s3, s12, s18
	v_add3_u32 v13, v13, v15, v14
	s_add_i32 s2, s3, s2
	s_mul_i32 s3, s13, s18
	v_lshlrev_b64 v[12:13], 3, v[12:13]
	s_add_i32 s3, s2, s3
	s_mul_i32 s2, s12, s18
	v_lshl_add_u64 v[4:5], v[4:5], 3, v[12:13]
	s_lshl_b64 s[0:1], s[16:17], 3
	s_lshl_b64 s[2:3], s[2:3], 3
	v_lshl_add_u64 v[0:1], v[4:5], 0, v[0:1]
	s_sub_u32 s0, s0, s2
	v_lshl_add_u64 v[0:1], s[6:7], 0, v[0:1]
	s_subb_u32 s1, s1, s3
	s_mov_b64 s[2:3], 0
.LBB5_110:                              ; =>This Inner Loop Header: Depth=1
	global_load_dwordx2 v[4:5], v[0:1], off
	v_lshl_add_u64 v[2:3], v[2:3], 0, 1
	v_cmp_ge_i64_e32 vcc, v[2:3], v[6:7]
	v_lshl_add_u64 v[0:1], v[0:1], 0, s[0:1]
	s_or_b64 s[2:3], vcc, s[2:3]
	s_waitcnt vmcnt(0)
	v_add_f64 v[8:9], v[8:9], v[4:5]
	global_store_dwordx2 v[10:11], v[8:9], off
	s_andn2_b64 exec, exec, s[2:3]
	s_cbranch_execnz .LBB5_110
.LBB5_111:
	s_endpgm
	.section	.rodata,"a",@progbits
	.p2align	6, 0x0
	.amdhsa_kernel _ZN2at6native12_GLOBAL__N_135_unfold_backward_elementwise_kernelILi256ELi4EZNS1_32_unfold_backward_internal_kernelIdEEvRNS_14TensorIteratorEllllllEUliE_EEviT1_
		.amdhsa_group_segment_fixed_size 0
		.amdhsa_private_segment_fixed_size 0
		.amdhsa_kernarg_size 464
		.amdhsa_user_sgpr_count 2
		.amdhsa_user_sgpr_dispatch_ptr 0
		.amdhsa_user_sgpr_queue_ptr 0
		.amdhsa_user_sgpr_kernarg_segment_ptr 1
		.amdhsa_user_sgpr_dispatch_id 0
		.amdhsa_user_sgpr_kernarg_preload_length 0
		.amdhsa_user_sgpr_kernarg_preload_offset 0
		.amdhsa_user_sgpr_private_segment_size 0
		.amdhsa_uses_dynamic_stack 0
		.amdhsa_enable_private_segment 0
		.amdhsa_system_sgpr_workgroup_id_x 1
		.amdhsa_system_sgpr_workgroup_id_y 0
		.amdhsa_system_sgpr_workgroup_id_z 0
		.amdhsa_system_sgpr_workgroup_info 0
		.amdhsa_system_vgpr_workitem_id 0
		.amdhsa_next_free_vgpr 20
		.amdhsa_next_free_sgpr 73
		.amdhsa_accum_offset 20
		.amdhsa_reserve_vcc 1
		.amdhsa_float_round_mode_32 0
		.amdhsa_float_round_mode_16_64 0
		.amdhsa_float_denorm_mode_32 3
		.amdhsa_float_denorm_mode_16_64 3
		.amdhsa_dx10_clamp 1
		.amdhsa_ieee_mode 1
		.amdhsa_fp16_overflow 0
		.amdhsa_tg_split 0
		.amdhsa_exception_fp_ieee_invalid_op 0
		.amdhsa_exception_fp_denorm_src 0
		.amdhsa_exception_fp_ieee_div_zero 0
		.amdhsa_exception_fp_ieee_overflow 0
		.amdhsa_exception_fp_ieee_underflow 0
		.amdhsa_exception_fp_ieee_inexact 0
		.amdhsa_exception_int_div_zero 0
	.end_amdhsa_kernel
	.section	.text._ZN2at6native12_GLOBAL__N_135_unfold_backward_elementwise_kernelILi256ELi4EZNS1_32_unfold_backward_internal_kernelIdEEvRNS_14TensorIteratorEllllllEUliE_EEviT1_,"axG",@progbits,_ZN2at6native12_GLOBAL__N_135_unfold_backward_elementwise_kernelILi256ELi4EZNS1_32_unfold_backward_internal_kernelIdEEvRNS_14TensorIteratorEllllllEUliE_EEviT1_,comdat
.Lfunc_end5:
	.size	_ZN2at6native12_GLOBAL__N_135_unfold_backward_elementwise_kernelILi256ELi4EZNS1_32_unfold_backward_internal_kernelIdEEvRNS_14TensorIteratorEllllllEUliE_EEviT1_, .Lfunc_end5-_ZN2at6native12_GLOBAL__N_135_unfold_backward_elementwise_kernelILi256ELi4EZNS1_32_unfold_backward_internal_kernelIdEEvRNS_14TensorIteratorEllllllEUliE_EEviT1_
                                        ; -- End function
	.set _ZN2at6native12_GLOBAL__N_135_unfold_backward_elementwise_kernelILi256ELi4EZNS1_32_unfold_backward_internal_kernelIdEEvRNS_14TensorIteratorEllllllEUliE_EEviT1_.num_vgpr, 20
	.set _ZN2at6native12_GLOBAL__N_135_unfold_backward_elementwise_kernelILi256ELi4EZNS1_32_unfold_backward_internal_kernelIdEEvRNS_14TensorIteratorEllllllEUliE_EEviT1_.num_agpr, 0
	.set _ZN2at6native12_GLOBAL__N_135_unfold_backward_elementwise_kernelILi256ELi4EZNS1_32_unfold_backward_internal_kernelIdEEvRNS_14TensorIteratorEllllllEUliE_EEviT1_.numbered_sgpr, 73
	.set _ZN2at6native12_GLOBAL__N_135_unfold_backward_elementwise_kernelILi256ELi4EZNS1_32_unfold_backward_internal_kernelIdEEvRNS_14TensorIteratorEllllllEUliE_EEviT1_.num_named_barrier, 0
	.set _ZN2at6native12_GLOBAL__N_135_unfold_backward_elementwise_kernelILi256ELi4EZNS1_32_unfold_backward_internal_kernelIdEEvRNS_14TensorIteratorEllllllEUliE_EEviT1_.private_seg_size, 0
	.set _ZN2at6native12_GLOBAL__N_135_unfold_backward_elementwise_kernelILi256ELi4EZNS1_32_unfold_backward_internal_kernelIdEEvRNS_14TensorIteratorEllllllEUliE_EEviT1_.uses_vcc, 1
	.set _ZN2at6native12_GLOBAL__N_135_unfold_backward_elementwise_kernelILi256ELi4EZNS1_32_unfold_backward_internal_kernelIdEEvRNS_14TensorIteratorEllllllEUliE_EEviT1_.uses_flat_scratch, 0
	.set _ZN2at6native12_GLOBAL__N_135_unfold_backward_elementwise_kernelILi256ELi4EZNS1_32_unfold_backward_internal_kernelIdEEvRNS_14TensorIteratorEllllllEUliE_EEviT1_.has_dyn_sized_stack, 0
	.set _ZN2at6native12_GLOBAL__N_135_unfold_backward_elementwise_kernelILi256ELi4EZNS1_32_unfold_backward_internal_kernelIdEEvRNS_14TensorIteratorEllllllEUliE_EEviT1_.has_recursion, 0
	.set _ZN2at6native12_GLOBAL__N_135_unfold_backward_elementwise_kernelILi256ELi4EZNS1_32_unfold_backward_internal_kernelIdEEvRNS_14TensorIteratorEllllllEUliE_EEviT1_.has_indirect_call, 0
	.section	.AMDGPU.csdata,"",@progbits
; Kernel info:
; codeLenInByte = 11044
; TotalNumSgprs: 79
; NumVgprs: 20
; NumAgprs: 0
; TotalNumVgprs: 20
; ScratchSize: 0
; MemoryBound: 0
; FloatMode: 240
; IeeeMode: 1
; LDSByteSize: 0 bytes/workgroup (compile time only)
; SGPRBlocks: 9
; VGPRBlocks: 2
; NumSGPRsForWavesPerEU: 79
; NumVGPRsForWavesPerEU: 20
; AccumOffset: 20
; Occupancy: 8
; WaveLimiterHint : 1
; COMPUTE_PGM_RSRC2:SCRATCH_EN: 0
; COMPUTE_PGM_RSRC2:USER_SGPR: 2
; COMPUTE_PGM_RSRC2:TRAP_HANDLER: 0
; COMPUTE_PGM_RSRC2:TGID_X_EN: 1
; COMPUTE_PGM_RSRC2:TGID_Y_EN: 0
; COMPUTE_PGM_RSRC2:TGID_Z_EN: 0
; COMPUTE_PGM_RSRC2:TIDIG_COMP_CNT: 0
; COMPUTE_PGM_RSRC3_GFX90A:ACCUM_OFFSET: 4
; COMPUTE_PGM_RSRC3_GFX90A:TG_SPLIT: 0
	.section	.text._ZN2at6native12_GLOBAL__N_135_unfold_backward_elementwise_kernelILi256ELi4EZNS1_32_unfold_backward_internal_kernelIfEEvRNS_14TensorIteratorEllllllEUliE_EEviT1_,"axG",@progbits,_ZN2at6native12_GLOBAL__N_135_unfold_backward_elementwise_kernelILi256ELi4EZNS1_32_unfold_backward_internal_kernelIfEEvRNS_14TensorIteratorEllllllEUliE_EEviT1_,comdat
	.globl	_ZN2at6native12_GLOBAL__N_135_unfold_backward_elementwise_kernelILi256ELi4EZNS1_32_unfold_backward_internal_kernelIfEEvRNS_14TensorIteratorEllllllEUliE_EEviT1_ ; -- Begin function _ZN2at6native12_GLOBAL__N_135_unfold_backward_elementwise_kernelILi256ELi4EZNS1_32_unfold_backward_internal_kernelIfEEvRNS_14TensorIteratorEllllllEUliE_EEviT1_
	.p2align	8
	.type	_ZN2at6native12_GLOBAL__N_135_unfold_backward_elementwise_kernelILi256ELi4EZNS1_32_unfold_backward_internal_kernelIfEEvRNS_14TensorIteratorEllllllEUliE_EEviT1_,@function
_ZN2at6native12_GLOBAL__N_135_unfold_backward_elementwise_kernelILi256ELi4EZNS1_32_unfold_backward_internal_kernelIfEEvRNS_14TensorIteratorEllllllEUliE_EEviT1_: ; @_ZN2at6native12_GLOBAL__N_135_unfold_backward_elementwise_kernelILi256ELi4EZNS1_32_unfold_backward_internal_kernelIfEEvRNS_14TensorIteratorEllllllEUliE_EEviT1_
; %bb.0:
	s_load_dword s70, s[0:1], 0x0
	s_load_dwordx8 s[20:27], s[0:1], 0x8
	v_lshl_or_b32 v14, s2, 10, v0
	s_waitcnt lgkmcnt(0)
	s_add_u32 s27, s0, 8
	s_load_dwordx16 s[4:19], s[0:1], 0x190
	s_load_dwordx4 s[28:31], s[0:1], 0xcc
	s_load_dwordx2 s[34:35], s[0:1], 0xdc
	s_addc_u32 s33, s1, 0
	v_sub_co_u32_e64 v0, s[2:3], s20, 1
	s_nop 0
	v_readfirstlane_b32 s68, v0
	s_xor_b64 s[64:65], s[2:3], -1
	s_or_b32 s62, s0, 12
	s_min_u32 s69, s68, 15
	s_mov_b32 s63, s1
	s_cmp_gt_u32 s20, 1
	v_cmp_lt_u32_e64 s[0:1], 1, v0
	s_cselect_b64 s[60:61], -1, 0
	s_waitcnt lgkmcnt(0)
	s_add_u32 s14, s14, -1
	v_cndmask_b32_e64 v0, 0, 1, s[0:1]
	s_mov_b64 s[2:3], -1
	s_addc_u32 s15, s15, -1
	v_cmp_gt_i32_e32 vcc, s70, v14
	v_cmp_ne_u32_e64 s[0:1], 1, v0
	s_and_saveexec_b64 s[66:67], vcc
	s_cbranch_execnz .LBB6_4
; %bb.1:
	s_or_b64 exec, exec, s[66:67]
	v_cmp_gt_i32_e32 vcc, s70, v14
	s_and_saveexec_b64 s[66:67], vcc
	s_cbranch_execnz .LBB6_31
.LBB6_2:
	s_or_b64 exec, exec, s[66:67]
	v_cmp_gt_i32_e32 vcc, s70, v14
	s_and_saveexec_b64 s[66:67], vcc
	s_cbranch_execnz .LBB6_58
.LBB6_3:
	s_or_b64 exec, exec, s[66:67]
	v_cmp_gt_i32_e32 vcc, s70, v14
	s_and_saveexec_b64 s[2:3], vcc
	s_cbranch_execnz .LBB6_85
	s_branch .LBB6_111
.LBB6_4:
	s_and_b64 vcc, exec, s[0:1]
                                        ; implicit-def: $vgpr4
                                        ; implicit-def: $vgpr0
                                        ; implicit-def: $vgpr2
	s_cbranch_vccnz .LBB6_14
; %bb.5:
	v_mov_b32_e32 v4, 0
	s_andn2_b64 vcc, exec, s[64:65]
	v_mov_b32_e32 v0, 0
	v_mov_b32_e32 v2, 0
	s_cbranch_vccnz .LBB6_13
; %bb.6:
	s_add_i32 s71, s69, 1
	s_cmp_eq_u32 s68, 2
	s_cbranch_scc1 .LBB6_10
; %bb.7:
	s_and_b32 s20, s71, 28
	v_mov_b32_e32 v2, 0
	s_mov_b32 s72, 0
	s_mov_b64 s[2:3], s[62:63]
	v_mov_b32_e32 v6, v14
	v_mov_b32_e32 v0, 0
	;; [unrolled: 1-line block ×3, first 2 shown]
.LBB6_8:                                ; =>This Inner Loop Header: Depth=1
	s_load_dwordx8 s[36:43], s[2:3], 0x0
	s_load_dwordx4 s[52:55], s[2:3], 0x20
	s_load_dwordx4 s[56:59], s[2:3], 0xe0
	s_load_dwordx8 s[44:51], s[2:3], 0xc0
	s_add_i32 s72, s72, 4
	s_waitcnt lgkmcnt(0)
	v_mul_hi_u32 v1, s37, v6
	v_add_u32_e32 v1, v6, v1
	v_lshrrev_b32_e32 v1, s38, v1
	v_mul_hi_u32 v5, s40, v1
	v_add_u32_e32 v5, v1, v5
	v_lshrrev_b32_e32 v5, s41, v5
	v_mul_lo_u32 v3, v1, s36
	v_mul_lo_u32 v8, v5, s39
	v_mul_hi_u32 v9, s43, v5
	v_sub_u32_e32 v3, v6, v3
	v_sub_u32_e32 v1, v1, v8
	v_add_u32_e32 v8, v5, v9
	v_mul_lo_u32 v6, v3, s44
	v_mul_lo_u32 v7, v3, s46
	;; [unrolled: 1-line block ×6, first 2 shown]
	v_lshrrev_b32_e32 v8, s52, v8
	v_add3_u32 v0, v3, v0, v1
	v_add3_u32 v1, v7, v4, v10
	v_mul_hi_u32 v4, s54, v8
	v_add_u32_e32 v4, v8, v4
	v_add3_u32 v2, v6, v2, v9
	v_lshrrev_b32_e32 v6, s55, v4
	v_mul_lo_u32 v3, v8, s42
	v_mul_lo_u32 v4, v6, s53
	s_add_u32 s2, s2, 48
	v_sub_u32_e32 v3, v5, v3
	v_sub_u32_e32 v4, v8, v4
	s_addc_u32 s3, s3, 0
	v_mul_lo_u32 v5, v3, s50
	v_mul_lo_u32 v7, v3, s51
	v_mul_lo_u32 v3, v3, s56
	v_mul_lo_u32 v8, v4, s57
	v_mul_lo_u32 v9, v4, s58
	v_mul_lo_u32 v4, v4, s59
	s_cmp_lg_u32 s20, s72
	v_add3_u32 v2, v5, v2, v8
	v_add3_u32 v4, v3, v1, v4
	;; [unrolled: 1-line block ×3, first 2 shown]
	s_cbranch_scc1 .LBB6_8
; %bb.9:
	v_mov_b32_e32 v1, v4
	s_and_b32 s36, s71, 3
	s_cmp_eq_u32 s36, 0
	s_cbranch_scc0 .LBB6_11
	s_branch .LBB6_13
.LBB6_10:
	v_mov_b32_e32 v0, 0
	s_mov_b32 s20, 0
	v_mov_b32_e32 v1, v0
                                        ; implicit-def: $vgpr4
	v_mov_b32_e32 v6, v14
	v_mov_b32_e32 v2, v0
	s_and_b32 s36, s71, 3
	s_cmp_eq_u32 s36, 0
	s_cbranch_scc1 .LBB6_13
.LBB6_11:
	s_mul_i32 s2, s20, 12
	s_add_u32 s2, s27, s2
	s_addc_u32 s3, s33, 0
	s_add_u32 s2, s2, 4
	s_addc_u32 s3, s3, 0
.LBB6_12:                               ; =>This Inner Loop Header: Depth=1
	s_load_dwordx2 s[38:39], s[2:3], 0x0
	s_load_dword s20, s[2:3], 0x8
	s_load_dwordx2 s[40:41], s[2:3], 0xc0
	s_load_dword s37, s[2:3], 0xc8
	v_mov_b32_e32 v4, v1
	s_waitcnt lgkmcnt(0)
	v_mul_hi_u32 v1, s39, v6
	v_add_u32_e32 v1, v6, v1
	v_lshrrev_b32_e32 v1, s20, v1
	v_mul_lo_u32 v3, v1, s38
	s_add_u32 s2, s2, 12
	v_sub_u32_e32 v7, v6, v3
	s_addc_u32 s3, s3, 0
	s_add_i32 s36, s36, -1
	v_mov_b32_e32 v6, v1
	v_mad_u64_u32 v[4:5], s[38:39], v7, s37, v[4:5]
	v_mad_u64_u32 v[0:1], s[38:39], v7, s41, v[0:1]
	s_cmp_lg_u32 s36, 0
	v_mad_u64_u32 v[2:3], s[38:39], v7, s40, v[2:3]
	v_mov_b32_e32 v1, v4
	s_cbranch_scc1 .LBB6_12
.LBB6_13:
	s_mov_b64 s[2:3], 0
.LBB6_14:
	s_andn2_b64 vcc, exec, s[2:3]
	s_cbranch_vccnz .LBB6_17
; %bb.15:
	v_mul_hi_u32 v0, s22, v14
	v_add_u32_e32 v0, v14, v0
	v_lshrrev_b32_e32 v1, s23, v0
	v_mul_lo_u32 v0, v1, s21
	v_sub_u32_e32 v0, v14, v0
	v_mul_lo_u32 v2, v0, s28
	v_mul_lo_u32 v4, v0, s30
	s_andn2_b64 vcc, exec, s[60:61]
	v_mul_lo_u32 v0, v0, s29
	s_cbranch_vccnz .LBB6_17
; %bb.16:
	v_mul_hi_u32 v3, s25, v1
	v_add_u32_e32 v3, v1, v3
	v_lshrrev_b32_e32 v3, s26, v3
	v_mul_lo_u32 v3, v3, s24
	v_sub_u32_e32 v5, v1, v3
	v_mad_u64_u32 v[2:3], s[2:3], v5, s31, v[2:3]
	v_mad_u64_u32 v[0:1], s[2:3], v5, s34, v[0:1]
	;; [unrolled: 1-line block ×3, first 2 shown]
.LBB6_17:
	global_load_dwordx2 v[4:5], v4, s[8:9]
	v_mov_b64_e32 v[6:7], 0
	s_waitcnt vmcnt(0)
	v_cmp_lt_i64_e32 vcc, s[10:11], v[4:5]
	s_and_saveexec_b64 s[36:37], vcc
	s_cbranch_execz .LBB6_23
; %bb.18:
	v_mov_b32_e32 v1, s11
	v_subrev_co_u32_e32 v8, vcc, s10, v4
	v_mov_b32_e32 v10, 0
	s_nop 0
	v_subb_co_u32_e32 v9, vcc, v5, v1, vcc
	v_or_b32_e32 v11, s13, v9
	v_cmp_ne_u64_e32 vcc, 0, v[10:11]
                                        ; implicit-def: $vgpr6_vgpr7
	s_and_saveexec_b64 s[2:3], vcc
	s_xor_b64 s[38:39], exec, s[2:3]
	s_cbranch_execz .LBB6_20
; %bb.19:
	s_ashr_i32 s40, s13, 31
	s_add_u32 s2, s12, s40
	s_mov_b32 s41, s40
	s_addc_u32 s3, s13, s40
	s_xor_b64 s[42:43], s[2:3], s[40:41]
	v_cvt_f32_u32_e32 v1, s42
	v_cvt_f32_u32_e32 v3, s43
	s_sub_u32 s20, 0, s42
	s_subb_u32 s41, 0, s43
	v_ashrrev_i32_e32 v6, 31, v9
	v_fmamk_f32 v1, v3, 0x4f800000, v1
	v_rcp_f32_e32 v1, v1
	v_mov_b32_e32 v7, v6
	v_lshl_add_u64 v[8:9], v[8:9], 0, v[6:7]
	v_mov_b32_e32 v13, v10
	v_mul_f32_e32 v1, 0x5f7ffffc, v1
	v_mul_f32_e32 v3, 0x2f800000, v1
	v_trunc_f32_e32 v3, v3
	v_fmamk_f32 v1, v3, 0xcf800000, v1
	v_cvt_u32_f32_e32 v3, v3
	v_cvt_u32_f32_e32 v1, v1
	v_readfirstlane_b32 s44, v3
	v_readfirstlane_b32 s2, v1
	s_mul_i32 s3, s20, s44
	s_mul_hi_u32 s46, s20, s2
	s_mul_i32 s45, s41, s2
	s_add_i32 s3, s46, s3
	s_add_i32 s3, s3, s45
	s_mul_i32 s47, s20, s2
	s_mul_i32 s46, s2, s3
	s_mul_hi_u32 s48, s2, s47
	s_mul_hi_u32 s45, s2, s3
	s_add_u32 s46, s48, s46
	s_addc_u32 s45, 0, s45
	s_mul_hi_u32 s49, s44, s47
	s_mul_i32 s47, s44, s47
	s_add_u32 s46, s46, s47
	s_mul_hi_u32 s48, s44, s3
	s_addc_u32 s45, s45, s49
	s_addc_u32 s46, s48, 0
	s_mul_i32 s3, s44, s3
	s_add_u32 s3, s45, s3
	s_addc_u32 s45, 0, s46
	s_add_u32 s46, s2, s3
	s_cselect_b64 s[2:3], -1, 0
	s_cmp_lg_u64 s[2:3], 0
	s_addc_u32 s44, s44, s45
	s_mul_i32 s2, s20, s44
	s_mul_hi_u32 s3, s20, s46
	s_add_i32 s2, s3, s2
	s_mul_i32 s41, s41, s46
	s_add_i32 s2, s2, s41
	s_mul_i32 s20, s20, s46
	s_mul_hi_u32 s41, s44, s20
	s_mul_i32 s45, s44, s20
	s_mul_i32 s48, s46, s2
	s_mul_hi_u32 s20, s46, s20
	s_mul_hi_u32 s47, s46, s2
	s_add_u32 s20, s20, s48
	s_addc_u32 s47, 0, s47
	s_add_u32 s20, s20, s45
	s_mul_hi_u32 s3, s44, s2
	s_addc_u32 s20, s47, s41
	s_addc_u32 s3, s3, 0
	s_mul_i32 s2, s44, s2
	s_add_u32 s2, s20, s2
	s_addc_u32 s20, 0, s3
	s_add_u32 s41, s46, s2
	s_cselect_b64 s[2:3], -1, 0
	s_cmp_lg_u64 s[2:3], 0
	s_addc_u32 s20, s44, s20
	v_xor_b32_e32 v3, v8, v6
	v_xor_b32_e32 v1, v9, v6
	v_mad_u64_u32 v[8:9], s[2:3], v3, s20, 0
	v_mul_hi_u32 v12, v3, s41
	v_lshl_add_u64 v[8:9], v[12:13], 0, v[8:9]
	v_mad_u64_u32 v[16:17], s[2:3], v1, s41, 0
	v_add_co_u32_e32 v7, vcc, v8, v16
	v_mad_u64_u32 v[12:13], s[2:3], v1, s20, 0
	s_nop 0
	v_addc_co_u32_e32 v8, vcc, v9, v17, vcc
	v_mov_b32_e32 v9, v10
	s_nop 0
	v_addc_co_u32_e32 v13, vcc, 0, v13, vcc
	v_lshl_add_u64 v[8:9], v[8:9], 0, v[12:13]
	v_mul_lo_u32 v7, s43, v8
	v_mul_lo_u32 v12, s42, v9
	v_mad_u64_u32 v[10:11], s[2:3], s42, v8, 0
	v_add3_u32 v7, v11, v12, v7
	v_sub_u32_e32 v11, v1, v7
	v_mov_b32_e32 v12, s43
	v_sub_co_u32_e32 v3, vcc, v3, v10
	s_nop 1
	v_subb_co_u32_e64 v10, s[2:3], v11, v12, vcc
	v_subrev_co_u32_e64 v11, s[2:3], s42, v3
	v_subb_co_u32_e32 v1, vcc, v1, v7, vcc
	s_nop 0
	v_subbrev_co_u32_e64 v10, s[2:3], 0, v10, s[2:3]
	v_cmp_le_u32_e64 s[2:3], s43, v10
	v_cmp_le_u32_e32 vcc, s43, v1
	s_nop 0
	v_cndmask_b32_e64 v12, 0, -1, s[2:3]
	v_cmp_le_u32_e64 s[2:3], s42, v11
	v_cndmask_b32_e64 v7, 0, -1, vcc
	v_cmp_le_u32_e32 vcc, s42, v3
	v_cndmask_b32_e64 v11, 0, -1, s[2:3]
	v_cmp_eq_u32_e64 s[2:3], s43, v10
	v_cndmask_b32_e64 v3, 0, -1, vcc
	v_cmp_eq_u32_e32 vcc, s43, v1
	v_cndmask_b32_e64 v15, v12, v11, s[2:3]
	v_lshl_add_u64 v[10:11], v[8:9], 0, 2
	v_lshl_add_u64 v[12:13], v[8:9], 0, 1
	v_cmp_ne_u32_e64 s[2:3], 0, v15
	v_cndmask_b32_e32 v1, v7, v3, vcc
	v_cmp_ne_u32_e32 vcc, 0, v1
	v_cndmask_b32_e64 v3, v12, v10, s[2:3]
	v_cndmask_b32_e64 v11, v13, v11, s[2:3]
	v_cndmask_b32_e32 v3, v8, v3, vcc
	v_xor_b32_e32 v7, s40, v6
	v_cndmask_b32_e32 v1, v9, v11, vcc
	v_xor_b32_e32 v3, v3, v7
	v_xor_b32_e32 v1, v1, v7
	v_sub_co_u32_e32 v6, vcc, v3, v7
                                        ; implicit-def: $vgpr8
	s_nop 1
	v_subb_co_u32_e32 v7, vcc, v1, v7, vcc
.LBB6_20:
	s_andn2_saveexec_b64 s[2:3], s[38:39]
	s_cbranch_execz .LBB6_22
; %bb.21:
	v_cvt_f32_u32_e32 v1, s12
	s_sub_i32 s20, 0, s12
	v_rcp_iflag_f32_e32 v1, v1
	s_nop 0
	v_mul_f32_e32 v1, 0x4f7ffffe, v1
	v_cvt_u32_f32_e32 v1, v1
	v_mul_lo_u32 v3, s20, v1
	v_mul_hi_u32 v3, v1, v3
	v_add_u32_e32 v1, v1, v3
	v_mul_hi_u32 v1, v8, v1
	v_mul_lo_u32 v3, v1, s12
	v_sub_u32_e32 v3, v8, v3
	v_add_u32_e32 v6, 1, v1
	v_subrev_u32_e32 v7, s12, v3
	v_cmp_le_u32_e32 vcc, s12, v3
	s_nop 1
	v_cndmask_b32_e32 v3, v3, v7, vcc
	v_cndmask_b32_e32 v1, v1, v6, vcc
	v_add_u32_e32 v6, 1, v1
	v_cmp_le_u32_e32 vcc, s12, v3
	v_mov_b32_e32 v7, 0
	s_nop 0
	v_cndmask_b32_e32 v6, v1, v6, vcc
.LBB6_22:
	s_or_b64 exec, exec, s[2:3]
.LBB6_23:
	s_or_b64 exec, exec, s[36:37]
	v_or_b32_e32 v9, s13, v5
	v_mov_b32_e32 v8, 0
	v_cmp_ne_u64_e32 vcc, 0, v[8:9]
                                        ; implicit-def: $vgpr10_vgpr11
	s_and_saveexec_b64 s[2:3], vcc
	s_xor_b64 s[36:37], exec, s[2:3]
	s_cbranch_execz .LBB6_25
; %bb.24:
	s_ashr_i32 s38, s13, 31
	s_add_u32 s2, s12, s38
	s_mov_b32 s39, s38
	s_addc_u32 s3, s13, s38
	s_xor_b64 s[40:41], s[2:3], s[38:39]
	v_cvt_f32_u32_e32 v1, s40
	v_cvt_f32_u32_e32 v3, s41
	s_sub_u32 s20, 0, s40
	s_subb_u32 s39, 0, s41
	v_ashrrev_i32_e32 v10, 31, v5
	v_fmamk_f32 v1, v3, 0x4f800000, v1
	v_rcp_f32_e32 v1, v1
	v_mov_b32_e32 v11, v10
	v_lshl_add_u64 v[12:13], v[4:5], 0, v[10:11]
	v_mov_b32_e32 v17, v8
	v_mul_f32_e32 v1, 0x5f7ffffc, v1
	v_mul_f32_e32 v3, 0x2f800000, v1
	v_trunc_f32_e32 v3, v3
	v_fmamk_f32 v1, v3, 0xcf800000, v1
	v_cvt_u32_f32_e32 v3, v3
	v_cvt_u32_f32_e32 v1, v1
	v_readfirstlane_b32 s42, v3
	v_readfirstlane_b32 s2, v1
	s_mul_i32 s3, s20, s42
	s_mul_hi_u32 s44, s20, s2
	s_mul_i32 s43, s39, s2
	s_add_i32 s3, s44, s3
	s_add_i32 s3, s3, s43
	s_mul_i32 s45, s20, s2
	s_mul_i32 s44, s2, s3
	s_mul_hi_u32 s46, s2, s45
	s_mul_hi_u32 s43, s2, s3
	s_add_u32 s44, s46, s44
	s_addc_u32 s43, 0, s43
	s_mul_hi_u32 s47, s42, s45
	s_mul_i32 s45, s42, s45
	s_add_u32 s44, s44, s45
	s_mul_hi_u32 s46, s42, s3
	s_addc_u32 s43, s43, s47
	s_addc_u32 s44, s46, 0
	s_mul_i32 s3, s42, s3
	s_add_u32 s3, s43, s3
	s_addc_u32 s43, 0, s44
	s_add_u32 s44, s2, s3
	s_cselect_b64 s[2:3], -1, 0
	s_cmp_lg_u64 s[2:3], 0
	s_addc_u32 s42, s42, s43
	s_mul_i32 s2, s20, s42
	s_mul_hi_u32 s3, s20, s44
	s_add_i32 s2, s3, s2
	s_mul_i32 s39, s39, s44
	s_add_i32 s2, s2, s39
	s_mul_i32 s20, s20, s44
	s_mul_hi_u32 s39, s42, s20
	s_mul_i32 s43, s42, s20
	s_mul_i32 s46, s44, s2
	s_mul_hi_u32 s20, s44, s20
	s_mul_hi_u32 s45, s44, s2
	s_add_u32 s20, s20, s46
	s_addc_u32 s45, 0, s45
	s_add_u32 s20, s20, s43
	s_mul_hi_u32 s3, s42, s2
	s_addc_u32 s20, s45, s39
	s_addc_u32 s3, s3, 0
	s_mul_i32 s2, s42, s2
	s_add_u32 s2, s20, s2
	s_addc_u32 s20, 0, s3
	s_add_u32 s39, s44, s2
	s_cselect_b64 s[2:3], -1, 0
	s_cmp_lg_u64 s[2:3], 0
	s_addc_u32 s20, s42, s20
	v_xor_b32_e32 v3, v12, v10
	v_xor_b32_e32 v1, v13, v10
	v_mad_u64_u32 v[12:13], s[2:3], v3, s20, 0
	v_mul_hi_u32 v16, v3, s39
	v_lshl_add_u64 v[12:13], v[16:17], 0, v[12:13]
	v_mad_u64_u32 v[18:19], s[2:3], v1, s39, 0
	v_add_co_u32_e32 v9, vcc, v12, v18
	v_mad_u64_u32 v[16:17], s[2:3], v1, s20, 0
	s_nop 0
	v_addc_co_u32_e32 v12, vcc, v13, v19, vcc
	v_mov_b32_e32 v13, v8
	s_nop 0
	v_addc_co_u32_e32 v17, vcc, 0, v17, vcc
	v_lshl_add_u64 v[8:9], v[12:13], 0, v[16:17]
	v_mul_lo_u32 v11, s41, v8
	v_mul_lo_u32 v15, s40, v9
	v_mad_u64_u32 v[12:13], s[2:3], s40, v8, 0
	v_add3_u32 v11, v13, v15, v11
	v_sub_u32_e32 v13, v1, v11
	v_mov_b32_e32 v15, s41
	v_sub_co_u32_e32 v3, vcc, v3, v12
	v_lshl_add_u64 v[16:17], v[8:9], 0, 1
	s_nop 0
	v_subb_co_u32_e64 v12, s[2:3], v13, v15, vcc
	v_subrev_co_u32_e64 v13, s[2:3], s40, v3
	v_subb_co_u32_e32 v1, vcc, v1, v11, vcc
	s_nop 0
	v_subbrev_co_u32_e64 v12, s[2:3], 0, v12, s[2:3]
	v_cmp_le_u32_e64 s[2:3], s41, v12
	v_cmp_le_u32_e32 vcc, s41, v1
	s_nop 0
	v_cndmask_b32_e64 v15, 0, -1, s[2:3]
	v_cmp_le_u32_e64 s[2:3], s40, v13
	v_cndmask_b32_e64 v11, 0, -1, vcc
	v_cmp_le_u32_e32 vcc, s40, v3
	v_cndmask_b32_e64 v13, 0, -1, s[2:3]
	v_cmp_eq_u32_e64 s[2:3], s41, v12
	v_cndmask_b32_e64 v3, 0, -1, vcc
	v_cmp_eq_u32_e32 vcc, s41, v1
	v_cndmask_b32_e64 v15, v15, v13, s[2:3]
	v_lshl_add_u64 v[12:13], v[8:9], 0, 2
	v_cmp_ne_u32_e64 s[2:3], 0, v15
	v_cndmask_b32_e32 v1, v11, v3, vcc
	v_cmp_ne_u32_e32 vcc, 0, v1
	v_cndmask_b32_e64 v3, v16, v12, s[2:3]
	v_cndmask_b32_e64 v13, v17, v13, s[2:3]
	v_cndmask_b32_e32 v3, v8, v3, vcc
	v_xor_b32_e32 v8, s38, v10
	v_cndmask_b32_e32 v1, v9, v13, vcc
	v_xor_b32_e32 v3, v3, v8
	v_xor_b32_e32 v1, v1, v8
	v_sub_co_u32_e32 v10, vcc, v3, v8
	s_nop 1
	v_subb_co_u32_e32 v11, vcc, v1, v8, vcc
.LBB6_25:
	s_andn2_saveexec_b64 s[2:3], s[36:37]
	s_cbranch_execz .LBB6_27
; %bb.26:
	v_cvt_f32_u32_e32 v1, s12
	s_sub_i32 s20, 0, s12
	v_mov_b32_e32 v11, 0
	v_rcp_iflag_f32_e32 v1, v1
	s_nop 0
	v_mul_f32_e32 v1, 0x4f7ffffe, v1
	v_cvt_u32_f32_e32 v1, v1
	v_mul_lo_u32 v3, s20, v1
	v_mul_hi_u32 v3, v1, v3
	v_add_u32_e32 v1, v1, v3
	v_mul_hi_u32 v1, v4, v1
	v_mul_lo_u32 v3, v1, s12
	v_sub_u32_e32 v3, v4, v3
	v_add_u32_e32 v8, 1, v1
	v_subrev_u32_e32 v9, s12, v3
	v_cmp_le_u32_e32 vcc, s12, v3
	s_nop 1
	v_cndmask_b32_e32 v3, v3, v9, vcc
	v_cndmask_b32_e32 v1, v1, v8, vcc
	v_add_u32_e32 v8, 1, v1
	v_cmp_le_u32_e32 vcc, s12, v3
	s_nop 1
	v_cndmask_b32_e32 v10, v1, v8, vcc
.LBB6_27:
	s_or_b64 exec, exec, s[2:3]
	v_mul_lo_u32 v1, v7, s12
	v_mul_lo_u32 v3, v6, s13
	v_mad_u64_u32 v[8:9], s[2:3], v6, s12, 0
	v_add3_u32 v9, v9, v3, v1
	v_cmp_gt_i64_e32 vcc, v[8:9], v[4:5]
	v_mov_b64_e32 v[8:9], s[10:11]
	v_mad_u64_u32 v[8:9], s[2:3], v6, s12, v[8:9]
	v_add3_u32 v9, v1, v9, v3
	v_cmp_ge_i64_e64 s[2:3], v[4:5], v[8:9]
	s_or_b64 s[2:3], vcc, s[2:3]
	v_mov_b32_e32 v1, s15
	v_cndmask_b32_e64 v8, 0, 1, s[2:3]
	s_mov_b32 s2, 0
	v_mov_b32_e32 v9, s2
	v_cmp_gt_i64_e32 vcc, s[14:15], v[10:11]
	v_lshl_add_u64 v[12:13], v[6:7], 0, v[8:9]
	s_nop 0
	v_cndmask_b32_e32 v7, v1, v11, vcc
	v_mov_b32_e32 v1, s14
	v_cndmask_b32_e32 v6, v1, v10, vcc
	v_cmp_le_i64_e32 vcc, v[12:13], v[6:7]
	s_and_saveexec_b64 s[2:3], vcc
	s_cbranch_execz .LBB6_30
; %bb.28:
	global_load_dword v10, v2, s[4:5]
	v_mul_lo_u32 v11, s13, v12
	v_mul_lo_u32 v15, s12, v13
	v_mad_u64_u32 v[16:17], s[36:37], s12, v12, 0
	v_add3_u32 v11, v17, v15, v11
	v_sub_co_u32_e32 v4, vcc, v4, v16
	v_mov_b32_e32 v3, 0
	s_nop 0
	v_subb_co_u32_e32 v5, vcc, v5, v11, vcc
	v_mul_lo_u32 v11, s19, v4
	v_mul_lo_u32 v15, s18, v5
	v_mad_u64_u32 v[4:5], s[36:37], s18, v4, 0
	v_lshl_add_u64 v[8:9], s[4:5], 0, v[2:3]
	v_mov_b32_e32 v1, v3
	v_lshl_add_u64 v[2:3], v[12:13], 0, -1
	v_add3_u32 v5, v5, v15, v11
	v_mul_lo_u32 v11, s17, v12
	v_mul_lo_u32 v15, s16, v13
	v_mad_u64_u32 v[12:13], s[36:37], s16, v12, 0
	s_mul_i32 s20, s12, s19
	s_mul_hi_u32 s38, s12, s18
	v_add3_u32 v13, v13, v15, v11
	s_add_i32 s20, s38, s20
	s_mul_i32 s38, s13, s18
	v_lshlrev_b64 v[12:13], 2, v[12:13]
	s_add_i32 s39, s20, s38
	s_mul_i32 s38, s12, s18
	v_lshl_add_u64 v[4:5], v[4:5], 2, v[12:13]
	s_lshl_b64 s[36:37], s[16:17], 2
	s_lshl_b64 s[38:39], s[38:39], 2
	v_lshl_add_u64 v[0:1], v[4:5], 0, v[0:1]
	s_sub_u32 s36, s36, s38
	v_lshl_add_u64 v[0:1], s[6:7], 0, v[0:1]
	s_subb_u32 s37, s37, s39
	s_mov_b64 s[38:39], 0
.LBB6_29:                               ; =>This Inner Loop Header: Depth=1
	global_load_dword v4, v[0:1], off
	v_lshl_add_u64 v[2:3], v[2:3], 0, 1
	v_cmp_ge_i64_e32 vcc, v[2:3], v[6:7]
	v_lshl_add_u64 v[0:1], v[0:1], 0, s[36:37]
	s_or_b64 s[38:39], vcc, s[38:39]
	s_waitcnt vmcnt(0)
	v_add_f32_e32 v10, v10, v4
	global_store_dword v[8:9], v10, off
	s_andn2_b64 exec, exec, s[38:39]
	s_cbranch_execnz .LBB6_29
.LBB6_30:
	s_or_b64 exec, exec, s[2:3]
	v_add_u32_e32 v14, 0x100, v14
	s_or_b64 exec, exec, s[66:67]
	v_cmp_gt_i32_e32 vcc, s70, v14
	s_and_saveexec_b64 s[66:67], vcc
	s_cbranch_execz .LBB6_2
.LBB6_31:
	s_and_b64 vcc, exec, s[0:1]
	s_cbranch_vccnz .LBB6_37
; %bb.32:
	v_mov_b32_e32 v4, 0
	s_andn2_b64 vcc, exec, s[64:65]
	v_mov_b32_e32 v0, 0
	v_mov_b32_e32 v2, 0
	s_cbranch_vccnz .LBB6_41
; %bb.33:
	s_add_i32 s71, s69, 1
	s_cmp_eq_u32 s68, 2
	s_cbranch_scc1 .LBB6_38
; %bb.34:
	s_and_b32 s20, s71, 28
	v_mov_b32_e32 v2, 0
	s_mov_b32 s72, 0
	s_mov_b64 s[2:3], s[62:63]
	v_mov_b32_e32 v6, v14
	v_mov_b32_e32 v0, 0
	;; [unrolled: 1-line block ×3, first 2 shown]
.LBB6_35:                               ; =>This Inner Loop Header: Depth=1
	s_load_dwordx8 s[36:43], s[2:3], 0x0
	s_load_dwordx4 s[52:55], s[2:3], 0x20
	s_load_dwordx4 s[56:59], s[2:3], 0xe0
	s_load_dwordx8 s[44:51], s[2:3], 0xc0
	s_add_i32 s72, s72, 4
	s_waitcnt lgkmcnt(0)
	v_mul_hi_u32 v1, s37, v6
	v_add_u32_e32 v1, v6, v1
	v_lshrrev_b32_e32 v1, s38, v1
	v_mul_hi_u32 v5, s40, v1
	v_add_u32_e32 v5, v1, v5
	v_lshrrev_b32_e32 v5, s41, v5
	v_mul_lo_u32 v3, v1, s36
	v_mul_lo_u32 v8, v5, s39
	v_mul_hi_u32 v9, s43, v5
	v_sub_u32_e32 v3, v6, v3
	v_sub_u32_e32 v1, v1, v8
	v_add_u32_e32 v8, v5, v9
	v_mul_lo_u32 v6, v3, s44
	v_mul_lo_u32 v7, v3, s46
	v_mul_lo_u32 v3, v3, s45
	v_mul_lo_u32 v9, v1, s47
	v_mul_lo_u32 v10, v1, s49
	v_mul_lo_u32 v1, v1, s48
	v_lshrrev_b32_e32 v8, s52, v8
	v_add3_u32 v0, v3, v0, v1
	v_add3_u32 v1, v7, v4, v10
	v_mul_hi_u32 v4, s54, v8
	v_add_u32_e32 v4, v8, v4
	v_add3_u32 v2, v6, v2, v9
	v_lshrrev_b32_e32 v6, s55, v4
	v_mul_lo_u32 v3, v8, s42
	v_mul_lo_u32 v4, v6, s53
	s_add_u32 s2, s2, 48
	v_sub_u32_e32 v3, v5, v3
	v_sub_u32_e32 v4, v8, v4
	s_addc_u32 s3, s3, 0
	v_mul_lo_u32 v5, v3, s50
	v_mul_lo_u32 v7, v3, s51
	;; [unrolled: 1-line block ×6, first 2 shown]
	s_cmp_eq_u32 s20, s72
	v_add3_u32 v2, v5, v2, v8
	v_add3_u32 v4, v3, v1, v4
	;; [unrolled: 1-line block ×3, first 2 shown]
	s_cbranch_scc0 .LBB6_35
; %bb.36:
	v_mov_b32_e32 v1, v4
	s_and_b32 s36, s71, 3
	s_cmp_eq_u32 s36, 0
	s_cbranch_scc0 .LBB6_39
	s_branch .LBB6_41
.LBB6_37:
                                        ; implicit-def: $vgpr4
                                        ; implicit-def: $vgpr0
                                        ; implicit-def: $vgpr2
	s_branch .LBB6_42
.LBB6_38:
	v_mov_b32_e32 v0, 0
	s_mov_b32 s20, 0
	v_mov_b32_e32 v1, v0
                                        ; implicit-def: $vgpr4
	v_mov_b32_e32 v6, v14
	v_mov_b32_e32 v2, v0
	s_and_b32 s36, s71, 3
	s_cmp_eq_u32 s36, 0
	s_cbranch_scc1 .LBB6_41
.LBB6_39:
	s_mul_i32 s2, s20, 12
	s_add_u32 s2, s27, s2
	s_addc_u32 s3, s33, 0
	s_add_u32 s2, s2, 4
	s_addc_u32 s3, s3, 0
.LBB6_40:                               ; =>This Inner Loop Header: Depth=1
	s_load_dwordx2 s[38:39], s[2:3], 0x0
	s_load_dword s20, s[2:3], 0x8
	s_load_dwordx2 s[40:41], s[2:3], 0xc0
	s_load_dword s37, s[2:3], 0xc8
	v_mov_b32_e32 v4, v1
	s_waitcnt lgkmcnt(0)
	v_mul_hi_u32 v1, s39, v6
	v_add_u32_e32 v1, v6, v1
	v_lshrrev_b32_e32 v1, s20, v1
	v_mul_lo_u32 v3, v1, s38
	s_add_u32 s2, s2, 12
	v_sub_u32_e32 v7, v6, v3
	s_addc_u32 s3, s3, 0
	s_add_i32 s36, s36, -1
	v_mov_b32_e32 v6, v1
	v_mad_u64_u32 v[4:5], s[38:39], v7, s37, v[4:5]
	v_mad_u64_u32 v[0:1], s[38:39], v7, s41, v[0:1]
	s_cmp_lg_u32 s36, 0
	v_mad_u64_u32 v[2:3], s[38:39], v7, s40, v[2:3]
	v_mov_b32_e32 v1, v4
	s_cbranch_scc1 .LBB6_40
.LBB6_41:
	s_cbranch_execnz .LBB6_44
.LBB6_42:
	v_mul_hi_u32 v0, s22, v14
	v_add_u32_e32 v0, v14, v0
	v_lshrrev_b32_e32 v1, s23, v0
	v_mul_lo_u32 v0, v1, s21
	v_sub_u32_e32 v0, v14, v0
	v_mul_lo_u32 v2, v0, s28
	v_mul_lo_u32 v4, v0, s30
	s_andn2_b64 vcc, exec, s[60:61]
	v_mul_lo_u32 v0, v0, s29
	s_cbranch_vccnz .LBB6_44
; %bb.43:
	v_mul_hi_u32 v3, s25, v1
	v_add_u32_e32 v3, v1, v3
	v_lshrrev_b32_e32 v3, s26, v3
	v_mul_lo_u32 v3, v3, s24
	v_sub_u32_e32 v5, v1, v3
	v_mad_u64_u32 v[2:3], s[2:3], v5, s31, v[2:3]
	v_mad_u64_u32 v[0:1], s[2:3], v5, s34, v[0:1]
	;; [unrolled: 1-line block ×3, first 2 shown]
.LBB6_44:
	global_load_dwordx2 v[4:5], v4, s[8:9]
	v_mov_b64_e32 v[6:7], 0
	s_waitcnt vmcnt(0)
	v_cmp_lt_i64_e32 vcc, s[10:11], v[4:5]
	s_and_saveexec_b64 s[36:37], vcc
	s_cbranch_execz .LBB6_50
; %bb.45:
	v_mov_b32_e32 v1, s11
	v_subrev_co_u32_e32 v8, vcc, s10, v4
	v_mov_b32_e32 v10, 0
	s_nop 0
	v_subb_co_u32_e32 v9, vcc, v5, v1, vcc
	v_or_b32_e32 v11, s13, v9
	v_cmp_ne_u64_e32 vcc, 0, v[10:11]
                                        ; implicit-def: $vgpr6_vgpr7
	s_and_saveexec_b64 s[2:3], vcc
	s_xor_b64 s[38:39], exec, s[2:3]
	s_cbranch_execz .LBB6_47
; %bb.46:
	s_ashr_i32 s40, s13, 31
	s_add_u32 s2, s12, s40
	s_mov_b32 s41, s40
	s_addc_u32 s3, s13, s40
	s_xor_b64 s[42:43], s[2:3], s[40:41]
	v_cvt_f32_u32_e32 v1, s42
	v_cvt_f32_u32_e32 v3, s43
	s_sub_u32 s20, 0, s42
	s_subb_u32 s41, 0, s43
	v_ashrrev_i32_e32 v6, 31, v9
	v_fmamk_f32 v1, v3, 0x4f800000, v1
	v_rcp_f32_e32 v1, v1
	v_mov_b32_e32 v7, v6
	v_lshl_add_u64 v[8:9], v[8:9], 0, v[6:7]
	v_mov_b32_e32 v13, v10
	v_mul_f32_e32 v1, 0x5f7ffffc, v1
	v_mul_f32_e32 v3, 0x2f800000, v1
	v_trunc_f32_e32 v3, v3
	v_fmamk_f32 v1, v3, 0xcf800000, v1
	v_cvt_u32_f32_e32 v3, v3
	v_cvt_u32_f32_e32 v1, v1
	v_readfirstlane_b32 s44, v3
	v_readfirstlane_b32 s2, v1
	s_mul_i32 s3, s20, s44
	s_mul_hi_u32 s46, s20, s2
	s_mul_i32 s45, s41, s2
	s_add_i32 s3, s46, s3
	s_add_i32 s3, s3, s45
	s_mul_i32 s47, s20, s2
	s_mul_i32 s46, s2, s3
	s_mul_hi_u32 s48, s2, s47
	s_mul_hi_u32 s45, s2, s3
	s_add_u32 s46, s48, s46
	s_addc_u32 s45, 0, s45
	s_mul_hi_u32 s49, s44, s47
	s_mul_i32 s47, s44, s47
	s_add_u32 s46, s46, s47
	s_mul_hi_u32 s48, s44, s3
	s_addc_u32 s45, s45, s49
	s_addc_u32 s46, s48, 0
	s_mul_i32 s3, s44, s3
	s_add_u32 s3, s45, s3
	s_addc_u32 s45, 0, s46
	s_add_u32 s46, s2, s3
	s_cselect_b64 s[2:3], -1, 0
	s_cmp_lg_u64 s[2:3], 0
	s_addc_u32 s44, s44, s45
	s_mul_i32 s2, s20, s44
	s_mul_hi_u32 s3, s20, s46
	s_add_i32 s2, s3, s2
	s_mul_i32 s41, s41, s46
	s_add_i32 s2, s2, s41
	s_mul_i32 s20, s20, s46
	s_mul_hi_u32 s41, s44, s20
	s_mul_i32 s45, s44, s20
	s_mul_i32 s48, s46, s2
	s_mul_hi_u32 s20, s46, s20
	s_mul_hi_u32 s47, s46, s2
	s_add_u32 s20, s20, s48
	s_addc_u32 s47, 0, s47
	s_add_u32 s20, s20, s45
	s_mul_hi_u32 s3, s44, s2
	s_addc_u32 s20, s47, s41
	s_addc_u32 s3, s3, 0
	s_mul_i32 s2, s44, s2
	s_add_u32 s2, s20, s2
	s_addc_u32 s20, 0, s3
	s_add_u32 s41, s46, s2
	s_cselect_b64 s[2:3], -1, 0
	s_cmp_lg_u64 s[2:3], 0
	s_addc_u32 s20, s44, s20
	v_xor_b32_e32 v3, v8, v6
	v_xor_b32_e32 v1, v9, v6
	v_mad_u64_u32 v[8:9], s[2:3], v3, s20, 0
	v_mul_hi_u32 v12, v3, s41
	v_lshl_add_u64 v[8:9], v[12:13], 0, v[8:9]
	v_mad_u64_u32 v[16:17], s[2:3], v1, s41, 0
	v_add_co_u32_e32 v7, vcc, v8, v16
	v_mad_u64_u32 v[12:13], s[2:3], v1, s20, 0
	s_nop 0
	v_addc_co_u32_e32 v8, vcc, v9, v17, vcc
	v_mov_b32_e32 v9, v10
	s_nop 0
	v_addc_co_u32_e32 v13, vcc, 0, v13, vcc
	v_lshl_add_u64 v[8:9], v[8:9], 0, v[12:13]
	v_mul_lo_u32 v7, s43, v8
	v_mul_lo_u32 v12, s42, v9
	v_mad_u64_u32 v[10:11], s[2:3], s42, v8, 0
	v_add3_u32 v7, v11, v12, v7
	v_sub_u32_e32 v11, v1, v7
	v_mov_b32_e32 v12, s43
	v_sub_co_u32_e32 v3, vcc, v3, v10
	s_nop 1
	v_subb_co_u32_e64 v10, s[2:3], v11, v12, vcc
	v_subrev_co_u32_e64 v11, s[2:3], s42, v3
	v_subb_co_u32_e32 v1, vcc, v1, v7, vcc
	s_nop 0
	v_subbrev_co_u32_e64 v10, s[2:3], 0, v10, s[2:3]
	v_cmp_le_u32_e64 s[2:3], s43, v10
	v_cmp_le_u32_e32 vcc, s43, v1
	s_nop 0
	v_cndmask_b32_e64 v12, 0, -1, s[2:3]
	v_cmp_le_u32_e64 s[2:3], s42, v11
	v_cndmask_b32_e64 v7, 0, -1, vcc
	v_cmp_le_u32_e32 vcc, s42, v3
	v_cndmask_b32_e64 v11, 0, -1, s[2:3]
	v_cmp_eq_u32_e64 s[2:3], s43, v10
	v_cndmask_b32_e64 v3, 0, -1, vcc
	v_cmp_eq_u32_e32 vcc, s43, v1
	v_cndmask_b32_e64 v15, v12, v11, s[2:3]
	v_lshl_add_u64 v[10:11], v[8:9], 0, 2
	v_lshl_add_u64 v[12:13], v[8:9], 0, 1
	v_cmp_ne_u32_e64 s[2:3], 0, v15
	v_cndmask_b32_e32 v1, v7, v3, vcc
	v_cmp_ne_u32_e32 vcc, 0, v1
	v_cndmask_b32_e64 v3, v12, v10, s[2:3]
	v_cndmask_b32_e64 v11, v13, v11, s[2:3]
	v_cndmask_b32_e32 v3, v8, v3, vcc
	v_xor_b32_e32 v7, s40, v6
	v_cndmask_b32_e32 v1, v9, v11, vcc
	v_xor_b32_e32 v3, v3, v7
	v_xor_b32_e32 v1, v1, v7
	v_sub_co_u32_e32 v6, vcc, v3, v7
                                        ; implicit-def: $vgpr8
	s_nop 1
	v_subb_co_u32_e32 v7, vcc, v1, v7, vcc
.LBB6_47:
	s_andn2_saveexec_b64 s[2:3], s[38:39]
	s_cbranch_execz .LBB6_49
; %bb.48:
	v_cvt_f32_u32_e32 v1, s12
	s_sub_i32 s20, 0, s12
	v_rcp_iflag_f32_e32 v1, v1
	s_nop 0
	v_mul_f32_e32 v1, 0x4f7ffffe, v1
	v_cvt_u32_f32_e32 v1, v1
	v_mul_lo_u32 v3, s20, v1
	v_mul_hi_u32 v3, v1, v3
	v_add_u32_e32 v1, v1, v3
	v_mul_hi_u32 v1, v8, v1
	v_mul_lo_u32 v3, v1, s12
	v_sub_u32_e32 v3, v8, v3
	v_add_u32_e32 v6, 1, v1
	v_subrev_u32_e32 v7, s12, v3
	v_cmp_le_u32_e32 vcc, s12, v3
	s_nop 1
	v_cndmask_b32_e32 v3, v3, v7, vcc
	v_cndmask_b32_e32 v1, v1, v6, vcc
	v_add_u32_e32 v6, 1, v1
	v_cmp_le_u32_e32 vcc, s12, v3
	v_mov_b32_e32 v7, 0
	s_nop 0
	v_cndmask_b32_e32 v6, v1, v6, vcc
.LBB6_49:
	s_or_b64 exec, exec, s[2:3]
.LBB6_50:
	s_or_b64 exec, exec, s[36:37]
	v_or_b32_e32 v9, s13, v5
	v_mov_b32_e32 v8, 0
	v_cmp_ne_u64_e32 vcc, 0, v[8:9]
                                        ; implicit-def: $vgpr10_vgpr11
	s_and_saveexec_b64 s[2:3], vcc
	s_xor_b64 s[36:37], exec, s[2:3]
	s_cbranch_execz .LBB6_52
; %bb.51:
	s_ashr_i32 s38, s13, 31
	s_add_u32 s2, s12, s38
	s_mov_b32 s39, s38
	s_addc_u32 s3, s13, s38
	s_xor_b64 s[40:41], s[2:3], s[38:39]
	v_cvt_f32_u32_e32 v1, s40
	v_cvt_f32_u32_e32 v3, s41
	s_sub_u32 s20, 0, s40
	s_subb_u32 s39, 0, s41
	v_ashrrev_i32_e32 v10, 31, v5
	v_fmamk_f32 v1, v3, 0x4f800000, v1
	v_rcp_f32_e32 v1, v1
	v_mov_b32_e32 v11, v10
	v_lshl_add_u64 v[12:13], v[4:5], 0, v[10:11]
	v_mov_b32_e32 v17, v8
	v_mul_f32_e32 v1, 0x5f7ffffc, v1
	v_mul_f32_e32 v3, 0x2f800000, v1
	v_trunc_f32_e32 v3, v3
	v_fmamk_f32 v1, v3, 0xcf800000, v1
	v_cvt_u32_f32_e32 v3, v3
	v_cvt_u32_f32_e32 v1, v1
	v_readfirstlane_b32 s42, v3
	v_readfirstlane_b32 s2, v1
	s_mul_i32 s3, s20, s42
	s_mul_hi_u32 s44, s20, s2
	s_mul_i32 s43, s39, s2
	s_add_i32 s3, s44, s3
	s_add_i32 s3, s3, s43
	s_mul_i32 s45, s20, s2
	s_mul_i32 s44, s2, s3
	s_mul_hi_u32 s46, s2, s45
	s_mul_hi_u32 s43, s2, s3
	s_add_u32 s44, s46, s44
	s_addc_u32 s43, 0, s43
	s_mul_hi_u32 s47, s42, s45
	s_mul_i32 s45, s42, s45
	s_add_u32 s44, s44, s45
	s_mul_hi_u32 s46, s42, s3
	s_addc_u32 s43, s43, s47
	s_addc_u32 s44, s46, 0
	s_mul_i32 s3, s42, s3
	s_add_u32 s3, s43, s3
	s_addc_u32 s43, 0, s44
	s_add_u32 s44, s2, s3
	s_cselect_b64 s[2:3], -1, 0
	s_cmp_lg_u64 s[2:3], 0
	s_addc_u32 s42, s42, s43
	s_mul_i32 s2, s20, s42
	s_mul_hi_u32 s3, s20, s44
	s_add_i32 s2, s3, s2
	s_mul_i32 s39, s39, s44
	s_add_i32 s2, s2, s39
	s_mul_i32 s20, s20, s44
	s_mul_hi_u32 s39, s42, s20
	s_mul_i32 s43, s42, s20
	s_mul_i32 s46, s44, s2
	s_mul_hi_u32 s20, s44, s20
	s_mul_hi_u32 s45, s44, s2
	s_add_u32 s20, s20, s46
	s_addc_u32 s45, 0, s45
	s_add_u32 s20, s20, s43
	s_mul_hi_u32 s3, s42, s2
	s_addc_u32 s20, s45, s39
	s_addc_u32 s3, s3, 0
	s_mul_i32 s2, s42, s2
	s_add_u32 s2, s20, s2
	s_addc_u32 s20, 0, s3
	s_add_u32 s39, s44, s2
	s_cselect_b64 s[2:3], -1, 0
	s_cmp_lg_u64 s[2:3], 0
	s_addc_u32 s20, s42, s20
	v_xor_b32_e32 v3, v12, v10
	v_xor_b32_e32 v1, v13, v10
	v_mad_u64_u32 v[12:13], s[2:3], v3, s20, 0
	v_mul_hi_u32 v16, v3, s39
	v_lshl_add_u64 v[12:13], v[16:17], 0, v[12:13]
	v_mad_u64_u32 v[18:19], s[2:3], v1, s39, 0
	v_add_co_u32_e32 v9, vcc, v12, v18
	v_mad_u64_u32 v[16:17], s[2:3], v1, s20, 0
	s_nop 0
	v_addc_co_u32_e32 v12, vcc, v13, v19, vcc
	v_mov_b32_e32 v13, v8
	s_nop 0
	v_addc_co_u32_e32 v17, vcc, 0, v17, vcc
	v_lshl_add_u64 v[8:9], v[12:13], 0, v[16:17]
	v_mul_lo_u32 v11, s41, v8
	v_mul_lo_u32 v15, s40, v9
	v_mad_u64_u32 v[12:13], s[2:3], s40, v8, 0
	v_add3_u32 v11, v13, v15, v11
	v_sub_u32_e32 v13, v1, v11
	v_mov_b32_e32 v15, s41
	v_sub_co_u32_e32 v3, vcc, v3, v12
	v_lshl_add_u64 v[16:17], v[8:9], 0, 1
	s_nop 0
	v_subb_co_u32_e64 v12, s[2:3], v13, v15, vcc
	v_subrev_co_u32_e64 v13, s[2:3], s40, v3
	v_subb_co_u32_e32 v1, vcc, v1, v11, vcc
	s_nop 0
	v_subbrev_co_u32_e64 v12, s[2:3], 0, v12, s[2:3]
	v_cmp_le_u32_e64 s[2:3], s41, v12
	v_cmp_le_u32_e32 vcc, s41, v1
	s_nop 0
	v_cndmask_b32_e64 v15, 0, -1, s[2:3]
	v_cmp_le_u32_e64 s[2:3], s40, v13
	v_cndmask_b32_e64 v11, 0, -1, vcc
	v_cmp_le_u32_e32 vcc, s40, v3
	v_cndmask_b32_e64 v13, 0, -1, s[2:3]
	v_cmp_eq_u32_e64 s[2:3], s41, v12
	v_cndmask_b32_e64 v3, 0, -1, vcc
	v_cmp_eq_u32_e32 vcc, s41, v1
	v_cndmask_b32_e64 v15, v15, v13, s[2:3]
	v_lshl_add_u64 v[12:13], v[8:9], 0, 2
	v_cmp_ne_u32_e64 s[2:3], 0, v15
	v_cndmask_b32_e32 v1, v11, v3, vcc
	v_cmp_ne_u32_e32 vcc, 0, v1
	v_cndmask_b32_e64 v3, v16, v12, s[2:3]
	v_cndmask_b32_e64 v13, v17, v13, s[2:3]
	v_cndmask_b32_e32 v3, v8, v3, vcc
	v_xor_b32_e32 v8, s38, v10
	v_cndmask_b32_e32 v1, v9, v13, vcc
	v_xor_b32_e32 v3, v3, v8
	v_xor_b32_e32 v1, v1, v8
	v_sub_co_u32_e32 v10, vcc, v3, v8
	s_nop 1
	v_subb_co_u32_e32 v11, vcc, v1, v8, vcc
.LBB6_52:
	s_andn2_saveexec_b64 s[2:3], s[36:37]
	s_cbranch_execz .LBB6_54
; %bb.53:
	v_cvt_f32_u32_e32 v1, s12
	s_sub_i32 s20, 0, s12
	v_mov_b32_e32 v11, 0
	v_rcp_iflag_f32_e32 v1, v1
	s_nop 0
	v_mul_f32_e32 v1, 0x4f7ffffe, v1
	v_cvt_u32_f32_e32 v1, v1
	v_mul_lo_u32 v3, s20, v1
	v_mul_hi_u32 v3, v1, v3
	v_add_u32_e32 v1, v1, v3
	v_mul_hi_u32 v1, v4, v1
	v_mul_lo_u32 v3, v1, s12
	v_sub_u32_e32 v3, v4, v3
	v_add_u32_e32 v8, 1, v1
	v_subrev_u32_e32 v9, s12, v3
	v_cmp_le_u32_e32 vcc, s12, v3
	s_nop 1
	v_cndmask_b32_e32 v3, v3, v9, vcc
	v_cndmask_b32_e32 v1, v1, v8, vcc
	v_add_u32_e32 v8, 1, v1
	v_cmp_le_u32_e32 vcc, s12, v3
	s_nop 1
	v_cndmask_b32_e32 v10, v1, v8, vcc
.LBB6_54:
	s_or_b64 exec, exec, s[2:3]
	v_mul_lo_u32 v1, v7, s12
	v_mul_lo_u32 v3, v6, s13
	v_mad_u64_u32 v[8:9], s[2:3], v6, s12, 0
	v_add3_u32 v9, v9, v3, v1
	v_cmp_gt_i64_e32 vcc, v[8:9], v[4:5]
	v_mov_b64_e32 v[8:9], s[10:11]
	v_mad_u64_u32 v[8:9], s[2:3], v6, s12, v[8:9]
	v_add3_u32 v9, v1, v9, v3
	v_cmp_ge_i64_e64 s[2:3], v[4:5], v[8:9]
	s_or_b64 s[2:3], vcc, s[2:3]
	v_mov_b32_e32 v1, s15
	v_cndmask_b32_e64 v8, 0, 1, s[2:3]
	s_mov_b32 s2, 0
	v_mov_b32_e32 v9, s2
	v_cmp_gt_i64_e32 vcc, s[14:15], v[10:11]
	v_lshl_add_u64 v[12:13], v[6:7], 0, v[8:9]
	s_nop 0
	v_cndmask_b32_e32 v7, v1, v11, vcc
	v_mov_b32_e32 v1, s14
	v_cndmask_b32_e32 v6, v1, v10, vcc
	v_cmp_le_i64_e32 vcc, v[12:13], v[6:7]
	s_and_saveexec_b64 s[2:3], vcc
	s_cbranch_execz .LBB6_57
; %bb.55:
	global_load_dword v10, v2, s[4:5]
	v_mul_lo_u32 v11, s13, v12
	v_mul_lo_u32 v15, s12, v13
	v_mad_u64_u32 v[16:17], s[36:37], s12, v12, 0
	v_add3_u32 v11, v17, v15, v11
	v_sub_co_u32_e32 v4, vcc, v4, v16
	v_mov_b32_e32 v3, 0
	s_nop 0
	v_subb_co_u32_e32 v5, vcc, v5, v11, vcc
	v_mul_lo_u32 v11, s19, v4
	v_mul_lo_u32 v15, s18, v5
	v_mad_u64_u32 v[4:5], s[36:37], s18, v4, 0
	v_lshl_add_u64 v[8:9], s[4:5], 0, v[2:3]
	v_mov_b32_e32 v1, v3
	v_lshl_add_u64 v[2:3], v[12:13], 0, -1
	v_add3_u32 v5, v5, v15, v11
	v_mul_lo_u32 v11, s17, v12
	v_mul_lo_u32 v15, s16, v13
	v_mad_u64_u32 v[12:13], s[36:37], s16, v12, 0
	s_mul_i32 s20, s12, s19
	s_mul_hi_u32 s38, s12, s18
	v_add3_u32 v13, v13, v15, v11
	s_add_i32 s20, s38, s20
	s_mul_i32 s38, s13, s18
	v_lshlrev_b64 v[12:13], 2, v[12:13]
	s_add_i32 s39, s20, s38
	s_mul_i32 s38, s12, s18
	v_lshl_add_u64 v[4:5], v[4:5], 2, v[12:13]
	s_lshl_b64 s[36:37], s[16:17], 2
	s_lshl_b64 s[38:39], s[38:39], 2
	v_lshl_add_u64 v[0:1], v[4:5], 0, v[0:1]
	s_sub_u32 s36, s36, s38
	v_lshl_add_u64 v[0:1], s[6:7], 0, v[0:1]
	s_subb_u32 s37, s37, s39
	s_mov_b64 s[38:39], 0
.LBB6_56:                               ; =>This Inner Loop Header: Depth=1
	global_load_dword v4, v[0:1], off
	v_lshl_add_u64 v[2:3], v[2:3], 0, 1
	v_cmp_ge_i64_e32 vcc, v[2:3], v[6:7]
	v_lshl_add_u64 v[0:1], v[0:1], 0, s[36:37]
	s_or_b64 s[38:39], vcc, s[38:39]
	s_waitcnt vmcnt(0)
	v_add_f32_e32 v10, v10, v4
	global_store_dword v[8:9], v10, off
	s_andn2_b64 exec, exec, s[38:39]
	s_cbranch_execnz .LBB6_56
.LBB6_57:
	s_or_b64 exec, exec, s[2:3]
	v_add_u32_e32 v14, 0x100, v14
	s_or_b64 exec, exec, s[66:67]
	v_cmp_gt_i32_e32 vcc, s70, v14
	s_and_saveexec_b64 s[66:67], vcc
	s_cbranch_execz .LBB6_3
.LBB6_58:
	s_and_b64 vcc, exec, s[0:1]
	s_cbranch_vccnz .LBB6_64
; %bb.59:
	v_mov_b32_e32 v4, 0
	s_andn2_b64 vcc, exec, s[64:65]
	v_mov_b32_e32 v0, 0
	v_mov_b32_e32 v2, 0
	s_cbranch_vccnz .LBB6_68
; %bb.60:
	s_add_i32 s71, s69, 1
	s_cmp_eq_u32 s68, 2
	s_cbranch_scc1 .LBB6_65
; %bb.61:
	s_and_b32 s20, s71, 28
	v_mov_b32_e32 v2, 0
	s_mov_b32 s72, 0
	s_mov_b64 s[2:3], s[62:63]
	v_mov_b32_e32 v6, v14
	v_mov_b32_e32 v0, 0
	;; [unrolled: 1-line block ×3, first 2 shown]
.LBB6_62:                               ; =>This Inner Loop Header: Depth=1
	s_load_dwordx8 s[36:43], s[2:3], 0x0
	s_load_dwordx4 s[52:55], s[2:3], 0x20
	s_load_dwordx4 s[56:59], s[2:3], 0xe0
	s_load_dwordx8 s[44:51], s[2:3], 0xc0
	s_add_i32 s72, s72, 4
	s_waitcnt lgkmcnt(0)
	v_mul_hi_u32 v1, s37, v6
	v_add_u32_e32 v1, v6, v1
	v_lshrrev_b32_e32 v1, s38, v1
	v_mul_hi_u32 v5, s40, v1
	v_add_u32_e32 v5, v1, v5
	v_lshrrev_b32_e32 v5, s41, v5
	v_mul_lo_u32 v3, v1, s36
	v_mul_lo_u32 v8, v5, s39
	v_mul_hi_u32 v9, s43, v5
	v_sub_u32_e32 v3, v6, v3
	v_sub_u32_e32 v1, v1, v8
	v_add_u32_e32 v8, v5, v9
	v_mul_lo_u32 v6, v3, s44
	v_mul_lo_u32 v7, v3, s46
	;; [unrolled: 1-line block ×6, first 2 shown]
	v_lshrrev_b32_e32 v8, s52, v8
	v_add3_u32 v0, v3, v0, v1
	v_add3_u32 v1, v7, v4, v10
	v_mul_hi_u32 v4, s54, v8
	v_add_u32_e32 v4, v8, v4
	v_add3_u32 v2, v6, v2, v9
	v_lshrrev_b32_e32 v6, s55, v4
	v_mul_lo_u32 v3, v8, s42
	v_mul_lo_u32 v4, v6, s53
	s_add_u32 s2, s2, 48
	v_sub_u32_e32 v3, v5, v3
	v_sub_u32_e32 v4, v8, v4
	s_addc_u32 s3, s3, 0
	v_mul_lo_u32 v5, v3, s50
	v_mul_lo_u32 v7, v3, s51
	;; [unrolled: 1-line block ×6, first 2 shown]
	s_cmp_eq_u32 s20, s72
	v_add3_u32 v2, v5, v2, v8
	v_add3_u32 v4, v3, v1, v4
	;; [unrolled: 1-line block ×3, first 2 shown]
	s_cbranch_scc0 .LBB6_62
; %bb.63:
	v_mov_b32_e32 v1, v4
	s_and_b32 s36, s71, 3
	s_cmp_eq_u32 s36, 0
	s_cbranch_scc0 .LBB6_66
	s_branch .LBB6_68
.LBB6_64:
                                        ; implicit-def: $vgpr4
                                        ; implicit-def: $vgpr0
                                        ; implicit-def: $vgpr2
	s_branch .LBB6_69
.LBB6_65:
	v_mov_b32_e32 v0, 0
	s_mov_b32 s20, 0
	v_mov_b32_e32 v1, v0
                                        ; implicit-def: $vgpr4
	v_mov_b32_e32 v6, v14
	v_mov_b32_e32 v2, v0
	s_and_b32 s36, s71, 3
	s_cmp_eq_u32 s36, 0
	s_cbranch_scc1 .LBB6_68
.LBB6_66:
	s_mul_i32 s2, s20, 12
	s_add_u32 s2, s27, s2
	s_addc_u32 s3, s33, 0
	s_add_u32 s2, s2, 4
	s_addc_u32 s3, s3, 0
.LBB6_67:                               ; =>This Inner Loop Header: Depth=1
	s_load_dwordx2 s[38:39], s[2:3], 0x0
	s_load_dword s20, s[2:3], 0x8
	s_load_dwordx2 s[40:41], s[2:3], 0xc0
	s_load_dword s37, s[2:3], 0xc8
	v_mov_b32_e32 v4, v1
	s_waitcnt lgkmcnt(0)
	v_mul_hi_u32 v1, s39, v6
	v_add_u32_e32 v1, v6, v1
	v_lshrrev_b32_e32 v1, s20, v1
	v_mul_lo_u32 v3, v1, s38
	s_add_u32 s2, s2, 12
	v_sub_u32_e32 v7, v6, v3
	s_addc_u32 s3, s3, 0
	s_add_i32 s36, s36, -1
	v_mov_b32_e32 v6, v1
	v_mad_u64_u32 v[4:5], s[38:39], v7, s37, v[4:5]
	v_mad_u64_u32 v[0:1], s[38:39], v7, s41, v[0:1]
	s_cmp_lg_u32 s36, 0
	v_mad_u64_u32 v[2:3], s[38:39], v7, s40, v[2:3]
	v_mov_b32_e32 v1, v4
	s_cbranch_scc1 .LBB6_67
.LBB6_68:
	s_cbranch_execnz .LBB6_71
.LBB6_69:
	v_mul_hi_u32 v0, s22, v14
	v_add_u32_e32 v0, v14, v0
	v_lshrrev_b32_e32 v1, s23, v0
	v_mul_lo_u32 v0, v1, s21
	v_sub_u32_e32 v0, v14, v0
	v_mul_lo_u32 v2, v0, s28
	v_mul_lo_u32 v4, v0, s30
	s_andn2_b64 vcc, exec, s[60:61]
	v_mul_lo_u32 v0, v0, s29
	s_cbranch_vccnz .LBB6_71
; %bb.70:
	v_mul_hi_u32 v3, s25, v1
	v_add_u32_e32 v3, v1, v3
	v_lshrrev_b32_e32 v3, s26, v3
	v_mul_lo_u32 v3, v3, s24
	v_sub_u32_e32 v5, v1, v3
	v_mad_u64_u32 v[2:3], s[2:3], v5, s31, v[2:3]
	v_mad_u64_u32 v[0:1], s[2:3], v5, s34, v[0:1]
	v_mad_u64_u32 v[4:5], s[2:3], v5, s35, v[4:5]
.LBB6_71:
	global_load_dwordx2 v[4:5], v4, s[8:9]
	v_mov_b64_e32 v[6:7], 0
	s_waitcnt vmcnt(0)
	v_cmp_lt_i64_e32 vcc, s[10:11], v[4:5]
	s_and_saveexec_b64 s[36:37], vcc
	s_cbranch_execz .LBB6_77
; %bb.72:
	v_mov_b32_e32 v1, s11
	v_subrev_co_u32_e32 v8, vcc, s10, v4
	v_mov_b32_e32 v10, 0
	s_nop 0
	v_subb_co_u32_e32 v9, vcc, v5, v1, vcc
	v_or_b32_e32 v11, s13, v9
	v_cmp_ne_u64_e32 vcc, 0, v[10:11]
                                        ; implicit-def: $vgpr6_vgpr7
	s_and_saveexec_b64 s[2:3], vcc
	s_xor_b64 s[38:39], exec, s[2:3]
	s_cbranch_execz .LBB6_74
; %bb.73:
	s_ashr_i32 s40, s13, 31
	s_add_u32 s2, s12, s40
	s_mov_b32 s41, s40
	s_addc_u32 s3, s13, s40
	s_xor_b64 s[42:43], s[2:3], s[40:41]
	v_cvt_f32_u32_e32 v1, s42
	v_cvt_f32_u32_e32 v3, s43
	s_sub_u32 s20, 0, s42
	s_subb_u32 s41, 0, s43
	v_ashrrev_i32_e32 v6, 31, v9
	v_fmamk_f32 v1, v3, 0x4f800000, v1
	v_rcp_f32_e32 v1, v1
	v_mov_b32_e32 v7, v6
	v_lshl_add_u64 v[8:9], v[8:9], 0, v[6:7]
	v_mov_b32_e32 v13, v10
	v_mul_f32_e32 v1, 0x5f7ffffc, v1
	v_mul_f32_e32 v3, 0x2f800000, v1
	v_trunc_f32_e32 v3, v3
	v_fmamk_f32 v1, v3, 0xcf800000, v1
	v_cvt_u32_f32_e32 v3, v3
	v_cvt_u32_f32_e32 v1, v1
	v_readfirstlane_b32 s44, v3
	v_readfirstlane_b32 s2, v1
	s_mul_i32 s3, s20, s44
	s_mul_hi_u32 s46, s20, s2
	s_mul_i32 s45, s41, s2
	s_add_i32 s3, s46, s3
	s_add_i32 s3, s3, s45
	s_mul_i32 s47, s20, s2
	s_mul_i32 s46, s2, s3
	s_mul_hi_u32 s48, s2, s47
	s_mul_hi_u32 s45, s2, s3
	s_add_u32 s46, s48, s46
	s_addc_u32 s45, 0, s45
	s_mul_hi_u32 s49, s44, s47
	s_mul_i32 s47, s44, s47
	s_add_u32 s46, s46, s47
	s_mul_hi_u32 s48, s44, s3
	s_addc_u32 s45, s45, s49
	s_addc_u32 s46, s48, 0
	s_mul_i32 s3, s44, s3
	s_add_u32 s3, s45, s3
	s_addc_u32 s45, 0, s46
	s_add_u32 s46, s2, s3
	s_cselect_b64 s[2:3], -1, 0
	s_cmp_lg_u64 s[2:3], 0
	s_addc_u32 s44, s44, s45
	s_mul_i32 s2, s20, s44
	s_mul_hi_u32 s3, s20, s46
	s_add_i32 s2, s3, s2
	s_mul_i32 s41, s41, s46
	s_add_i32 s2, s2, s41
	s_mul_i32 s20, s20, s46
	s_mul_hi_u32 s41, s44, s20
	s_mul_i32 s45, s44, s20
	s_mul_i32 s48, s46, s2
	s_mul_hi_u32 s20, s46, s20
	s_mul_hi_u32 s47, s46, s2
	s_add_u32 s20, s20, s48
	s_addc_u32 s47, 0, s47
	s_add_u32 s20, s20, s45
	s_mul_hi_u32 s3, s44, s2
	s_addc_u32 s20, s47, s41
	s_addc_u32 s3, s3, 0
	s_mul_i32 s2, s44, s2
	s_add_u32 s2, s20, s2
	s_addc_u32 s20, 0, s3
	s_add_u32 s41, s46, s2
	s_cselect_b64 s[2:3], -1, 0
	s_cmp_lg_u64 s[2:3], 0
	s_addc_u32 s20, s44, s20
	v_xor_b32_e32 v3, v8, v6
	v_xor_b32_e32 v1, v9, v6
	v_mad_u64_u32 v[8:9], s[2:3], v3, s20, 0
	v_mul_hi_u32 v12, v3, s41
	v_lshl_add_u64 v[8:9], v[12:13], 0, v[8:9]
	v_mad_u64_u32 v[16:17], s[2:3], v1, s41, 0
	v_add_co_u32_e32 v7, vcc, v8, v16
	v_mad_u64_u32 v[12:13], s[2:3], v1, s20, 0
	s_nop 0
	v_addc_co_u32_e32 v8, vcc, v9, v17, vcc
	v_mov_b32_e32 v9, v10
	s_nop 0
	v_addc_co_u32_e32 v13, vcc, 0, v13, vcc
	v_lshl_add_u64 v[8:9], v[8:9], 0, v[12:13]
	v_mul_lo_u32 v7, s43, v8
	v_mul_lo_u32 v12, s42, v9
	v_mad_u64_u32 v[10:11], s[2:3], s42, v8, 0
	v_add3_u32 v7, v11, v12, v7
	v_sub_u32_e32 v11, v1, v7
	v_mov_b32_e32 v12, s43
	v_sub_co_u32_e32 v3, vcc, v3, v10
	s_nop 1
	v_subb_co_u32_e64 v10, s[2:3], v11, v12, vcc
	v_subrev_co_u32_e64 v11, s[2:3], s42, v3
	v_subb_co_u32_e32 v1, vcc, v1, v7, vcc
	s_nop 0
	v_subbrev_co_u32_e64 v10, s[2:3], 0, v10, s[2:3]
	v_cmp_le_u32_e64 s[2:3], s43, v10
	v_cmp_le_u32_e32 vcc, s43, v1
	s_nop 0
	v_cndmask_b32_e64 v12, 0, -1, s[2:3]
	v_cmp_le_u32_e64 s[2:3], s42, v11
	v_cndmask_b32_e64 v7, 0, -1, vcc
	v_cmp_le_u32_e32 vcc, s42, v3
	v_cndmask_b32_e64 v11, 0, -1, s[2:3]
	v_cmp_eq_u32_e64 s[2:3], s43, v10
	v_cndmask_b32_e64 v3, 0, -1, vcc
	v_cmp_eq_u32_e32 vcc, s43, v1
	v_cndmask_b32_e64 v15, v12, v11, s[2:3]
	v_lshl_add_u64 v[10:11], v[8:9], 0, 2
	v_lshl_add_u64 v[12:13], v[8:9], 0, 1
	v_cmp_ne_u32_e64 s[2:3], 0, v15
	v_cndmask_b32_e32 v1, v7, v3, vcc
	v_cmp_ne_u32_e32 vcc, 0, v1
	v_cndmask_b32_e64 v3, v12, v10, s[2:3]
	v_cndmask_b32_e64 v11, v13, v11, s[2:3]
	v_cndmask_b32_e32 v3, v8, v3, vcc
	v_xor_b32_e32 v7, s40, v6
	v_cndmask_b32_e32 v1, v9, v11, vcc
	v_xor_b32_e32 v3, v3, v7
	v_xor_b32_e32 v1, v1, v7
	v_sub_co_u32_e32 v6, vcc, v3, v7
                                        ; implicit-def: $vgpr8
	s_nop 1
	v_subb_co_u32_e32 v7, vcc, v1, v7, vcc
.LBB6_74:
	s_andn2_saveexec_b64 s[2:3], s[38:39]
	s_cbranch_execz .LBB6_76
; %bb.75:
	v_cvt_f32_u32_e32 v1, s12
	s_sub_i32 s20, 0, s12
	v_rcp_iflag_f32_e32 v1, v1
	s_nop 0
	v_mul_f32_e32 v1, 0x4f7ffffe, v1
	v_cvt_u32_f32_e32 v1, v1
	v_mul_lo_u32 v3, s20, v1
	v_mul_hi_u32 v3, v1, v3
	v_add_u32_e32 v1, v1, v3
	v_mul_hi_u32 v1, v8, v1
	v_mul_lo_u32 v3, v1, s12
	v_sub_u32_e32 v3, v8, v3
	v_add_u32_e32 v6, 1, v1
	v_subrev_u32_e32 v7, s12, v3
	v_cmp_le_u32_e32 vcc, s12, v3
	s_nop 1
	v_cndmask_b32_e32 v3, v3, v7, vcc
	v_cndmask_b32_e32 v1, v1, v6, vcc
	v_add_u32_e32 v6, 1, v1
	v_cmp_le_u32_e32 vcc, s12, v3
	v_mov_b32_e32 v7, 0
	s_nop 0
	v_cndmask_b32_e32 v6, v1, v6, vcc
.LBB6_76:
	s_or_b64 exec, exec, s[2:3]
.LBB6_77:
	s_or_b64 exec, exec, s[36:37]
	v_or_b32_e32 v9, s13, v5
	v_mov_b32_e32 v8, 0
	v_cmp_ne_u64_e32 vcc, 0, v[8:9]
                                        ; implicit-def: $vgpr10_vgpr11
	s_and_saveexec_b64 s[2:3], vcc
	s_xor_b64 s[36:37], exec, s[2:3]
	s_cbranch_execz .LBB6_79
; %bb.78:
	s_ashr_i32 s38, s13, 31
	s_add_u32 s2, s12, s38
	s_mov_b32 s39, s38
	s_addc_u32 s3, s13, s38
	s_xor_b64 s[40:41], s[2:3], s[38:39]
	v_cvt_f32_u32_e32 v1, s40
	v_cvt_f32_u32_e32 v3, s41
	s_sub_u32 s20, 0, s40
	s_subb_u32 s39, 0, s41
	v_ashrrev_i32_e32 v10, 31, v5
	v_fmamk_f32 v1, v3, 0x4f800000, v1
	v_rcp_f32_e32 v1, v1
	v_mov_b32_e32 v11, v10
	v_lshl_add_u64 v[12:13], v[4:5], 0, v[10:11]
	v_mov_b32_e32 v17, v8
	v_mul_f32_e32 v1, 0x5f7ffffc, v1
	v_mul_f32_e32 v3, 0x2f800000, v1
	v_trunc_f32_e32 v3, v3
	v_fmamk_f32 v1, v3, 0xcf800000, v1
	v_cvt_u32_f32_e32 v3, v3
	v_cvt_u32_f32_e32 v1, v1
	v_readfirstlane_b32 s42, v3
	v_readfirstlane_b32 s2, v1
	s_mul_i32 s3, s20, s42
	s_mul_hi_u32 s44, s20, s2
	s_mul_i32 s43, s39, s2
	s_add_i32 s3, s44, s3
	s_add_i32 s3, s3, s43
	s_mul_i32 s45, s20, s2
	s_mul_i32 s44, s2, s3
	s_mul_hi_u32 s46, s2, s45
	s_mul_hi_u32 s43, s2, s3
	s_add_u32 s44, s46, s44
	s_addc_u32 s43, 0, s43
	s_mul_hi_u32 s47, s42, s45
	s_mul_i32 s45, s42, s45
	s_add_u32 s44, s44, s45
	s_mul_hi_u32 s46, s42, s3
	s_addc_u32 s43, s43, s47
	s_addc_u32 s44, s46, 0
	s_mul_i32 s3, s42, s3
	s_add_u32 s3, s43, s3
	s_addc_u32 s43, 0, s44
	s_add_u32 s44, s2, s3
	s_cselect_b64 s[2:3], -1, 0
	s_cmp_lg_u64 s[2:3], 0
	s_addc_u32 s42, s42, s43
	s_mul_i32 s2, s20, s42
	s_mul_hi_u32 s3, s20, s44
	s_add_i32 s2, s3, s2
	s_mul_i32 s39, s39, s44
	s_add_i32 s2, s2, s39
	s_mul_i32 s20, s20, s44
	s_mul_hi_u32 s39, s42, s20
	s_mul_i32 s43, s42, s20
	s_mul_i32 s46, s44, s2
	s_mul_hi_u32 s20, s44, s20
	s_mul_hi_u32 s45, s44, s2
	s_add_u32 s20, s20, s46
	s_addc_u32 s45, 0, s45
	s_add_u32 s20, s20, s43
	s_mul_hi_u32 s3, s42, s2
	s_addc_u32 s20, s45, s39
	s_addc_u32 s3, s3, 0
	s_mul_i32 s2, s42, s2
	s_add_u32 s2, s20, s2
	s_addc_u32 s20, 0, s3
	s_add_u32 s39, s44, s2
	s_cselect_b64 s[2:3], -1, 0
	s_cmp_lg_u64 s[2:3], 0
	s_addc_u32 s20, s42, s20
	v_xor_b32_e32 v3, v12, v10
	v_xor_b32_e32 v1, v13, v10
	v_mad_u64_u32 v[12:13], s[2:3], v3, s20, 0
	v_mul_hi_u32 v16, v3, s39
	v_lshl_add_u64 v[12:13], v[16:17], 0, v[12:13]
	v_mad_u64_u32 v[18:19], s[2:3], v1, s39, 0
	v_add_co_u32_e32 v9, vcc, v12, v18
	v_mad_u64_u32 v[16:17], s[2:3], v1, s20, 0
	s_nop 0
	v_addc_co_u32_e32 v12, vcc, v13, v19, vcc
	v_mov_b32_e32 v13, v8
	s_nop 0
	v_addc_co_u32_e32 v17, vcc, 0, v17, vcc
	v_lshl_add_u64 v[8:9], v[12:13], 0, v[16:17]
	v_mul_lo_u32 v11, s41, v8
	v_mul_lo_u32 v15, s40, v9
	v_mad_u64_u32 v[12:13], s[2:3], s40, v8, 0
	v_add3_u32 v11, v13, v15, v11
	v_sub_u32_e32 v13, v1, v11
	v_mov_b32_e32 v15, s41
	v_sub_co_u32_e32 v3, vcc, v3, v12
	v_lshl_add_u64 v[16:17], v[8:9], 0, 1
	s_nop 0
	v_subb_co_u32_e64 v12, s[2:3], v13, v15, vcc
	v_subrev_co_u32_e64 v13, s[2:3], s40, v3
	v_subb_co_u32_e32 v1, vcc, v1, v11, vcc
	s_nop 0
	v_subbrev_co_u32_e64 v12, s[2:3], 0, v12, s[2:3]
	v_cmp_le_u32_e64 s[2:3], s41, v12
	v_cmp_le_u32_e32 vcc, s41, v1
	s_nop 0
	v_cndmask_b32_e64 v15, 0, -1, s[2:3]
	v_cmp_le_u32_e64 s[2:3], s40, v13
	v_cndmask_b32_e64 v11, 0, -1, vcc
	v_cmp_le_u32_e32 vcc, s40, v3
	v_cndmask_b32_e64 v13, 0, -1, s[2:3]
	v_cmp_eq_u32_e64 s[2:3], s41, v12
	v_cndmask_b32_e64 v3, 0, -1, vcc
	v_cmp_eq_u32_e32 vcc, s41, v1
	v_cndmask_b32_e64 v15, v15, v13, s[2:3]
	v_lshl_add_u64 v[12:13], v[8:9], 0, 2
	v_cmp_ne_u32_e64 s[2:3], 0, v15
	v_cndmask_b32_e32 v1, v11, v3, vcc
	v_cmp_ne_u32_e32 vcc, 0, v1
	v_cndmask_b32_e64 v3, v16, v12, s[2:3]
	v_cndmask_b32_e64 v13, v17, v13, s[2:3]
	v_cndmask_b32_e32 v3, v8, v3, vcc
	v_xor_b32_e32 v8, s38, v10
	v_cndmask_b32_e32 v1, v9, v13, vcc
	v_xor_b32_e32 v3, v3, v8
	v_xor_b32_e32 v1, v1, v8
	v_sub_co_u32_e32 v10, vcc, v3, v8
	s_nop 1
	v_subb_co_u32_e32 v11, vcc, v1, v8, vcc
.LBB6_79:
	s_andn2_saveexec_b64 s[2:3], s[36:37]
	s_cbranch_execz .LBB6_81
; %bb.80:
	v_cvt_f32_u32_e32 v1, s12
	s_sub_i32 s20, 0, s12
	v_mov_b32_e32 v11, 0
	v_rcp_iflag_f32_e32 v1, v1
	s_nop 0
	v_mul_f32_e32 v1, 0x4f7ffffe, v1
	v_cvt_u32_f32_e32 v1, v1
	v_mul_lo_u32 v3, s20, v1
	v_mul_hi_u32 v3, v1, v3
	v_add_u32_e32 v1, v1, v3
	v_mul_hi_u32 v1, v4, v1
	v_mul_lo_u32 v3, v1, s12
	v_sub_u32_e32 v3, v4, v3
	v_add_u32_e32 v8, 1, v1
	v_subrev_u32_e32 v9, s12, v3
	v_cmp_le_u32_e32 vcc, s12, v3
	s_nop 1
	v_cndmask_b32_e32 v3, v3, v9, vcc
	v_cndmask_b32_e32 v1, v1, v8, vcc
	v_add_u32_e32 v8, 1, v1
	v_cmp_le_u32_e32 vcc, s12, v3
	s_nop 1
	v_cndmask_b32_e32 v10, v1, v8, vcc
.LBB6_81:
	s_or_b64 exec, exec, s[2:3]
	v_mul_lo_u32 v1, v7, s12
	v_mul_lo_u32 v3, v6, s13
	v_mad_u64_u32 v[8:9], s[2:3], v6, s12, 0
	v_add3_u32 v9, v9, v3, v1
	v_cmp_gt_i64_e32 vcc, v[8:9], v[4:5]
	v_mov_b64_e32 v[8:9], s[10:11]
	v_mad_u64_u32 v[8:9], s[2:3], v6, s12, v[8:9]
	v_add3_u32 v9, v1, v9, v3
	v_cmp_ge_i64_e64 s[2:3], v[4:5], v[8:9]
	s_or_b64 s[2:3], vcc, s[2:3]
	v_mov_b32_e32 v1, s15
	v_cndmask_b32_e64 v8, 0, 1, s[2:3]
	s_mov_b32 s2, 0
	v_mov_b32_e32 v9, s2
	v_cmp_gt_i64_e32 vcc, s[14:15], v[10:11]
	v_lshl_add_u64 v[12:13], v[6:7], 0, v[8:9]
	s_nop 0
	v_cndmask_b32_e32 v7, v1, v11, vcc
	v_mov_b32_e32 v1, s14
	v_cndmask_b32_e32 v6, v1, v10, vcc
	v_cmp_le_i64_e32 vcc, v[12:13], v[6:7]
	s_and_saveexec_b64 s[2:3], vcc
	s_cbranch_execz .LBB6_84
; %bb.82:
	global_load_dword v10, v2, s[4:5]
	v_mul_lo_u32 v11, s13, v12
	v_mul_lo_u32 v15, s12, v13
	v_mad_u64_u32 v[16:17], s[36:37], s12, v12, 0
	v_add3_u32 v11, v17, v15, v11
	v_sub_co_u32_e32 v4, vcc, v4, v16
	v_mov_b32_e32 v3, 0
	s_nop 0
	v_subb_co_u32_e32 v5, vcc, v5, v11, vcc
	v_mul_lo_u32 v11, s19, v4
	v_mul_lo_u32 v15, s18, v5
	v_mad_u64_u32 v[4:5], s[36:37], s18, v4, 0
	v_lshl_add_u64 v[8:9], s[4:5], 0, v[2:3]
	v_mov_b32_e32 v1, v3
	v_lshl_add_u64 v[2:3], v[12:13], 0, -1
	v_add3_u32 v5, v5, v15, v11
	v_mul_lo_u32 v11, s17, v12
	v_mul_lo_u32 v15, s16, v13
	v_mad_u64_u32 v[12:13], s[36:37], s16, v12, 0
	s_mul_i32 s20, s12, s19
	s_mul_hi_u32 s38, s12, s18
	v_add3_u32 v13, v13, v15, v11
	s_add_i32 s20, s38, s20
	s_mul_i32 s38, s13, s18
	v_lshlrev_b64 v[12:13], 2, v[12:13]
	s_add_i32 s39, s20, s38
	s_mul_i32 s38, s12, s18
	v_lshl_add_u64 v[4:5], v[4:5], 2, v[12:13]
	s_lshl_b64 s[36:37], s[16:17], 2
	s_lshl_b64 s[38:39], s[38:39], 2
	v_lshl_add_u64 v[0:1], v[4:5], 0, v[0:1]
	s_sub_u32 s36, s36, s38
	v_lshl_add_u64 v[0:1], s[6:7], 0, v[0:1]
	s_subb_u32 s37, s37, s39
	s_mov_b64 s[38:39], 0
.LBB6_83:                               ; =>This Inner Loop Header: Depth=1
	global_load_dword v4, v[0:1], off
	v_lshl_add_u64 v[2:3], v[2:3], 0, 1
	v_cmp_ge_i64_e32 vcc, v[2:3], v[6:7]
	v_lshl_add_u64 v[0:1], v[0:1], 0, s[36:37]
	s_or_b64 s[38:39], vcc, s[38:39]
	s_waitcnt vmcnt(0)
	v_add_f32_e32 v10, v10, v4
	global_store_dword v[8:9], v10, off
	s_andn2_b64 exec, exec, s[38:39]
	s_cbranch_execnz .LBB6_83
.LBB6_84:
	s_or_b64 exec, exec, s[2:3]
	v_add_u32_e32 v14, 0x100, v14
	s_or_b64 exec, exec, s[66:67]
	v_cmp_gt_i32_e32 vcc, s70, v14
	s_and_saveexec_b64 s[2:3], vcc
	s_cbranch_execz .LBB6_111
.LBB6_85:
	s_and_b64 vcc, exec, s[0:1]
	s_cbranch_vccnz .LBB6_91
; %bb.86:
	v_mov_b32_e32 v4, 0
	s_andn2_b64 vcc, exec, s[64:65]
	v_mov_b32_e32 v0, 0
	v_mov_b32_e32 v2, 0
	s_cbranch_vccnz .LBB6_95
; %bb.87:
	s_add_i32 s69, s69, 1
	s_cmp_eq_u32 s68, 2
	s_cbranch_scc1 .LBB6_92
; %bb.88:
	s_and_b32 s20, s69, 28
	v_mov_b32_e32 v2, 0
	s_mov_b32 s56, 0
	v_mov_b32_e32 v6, v14
	v_mov_b32_e32 v0, 0
	;; [unrolled: 1-line block ×3, first 2 shown]
.LBB6_89:                               ; =>This Inner Loop Header: Depth=1
	s_load_dwordx8 s[36:43], s[62:63], 0x0
	s_load_dwordx4 s[0:3], s[62:63], 0x20
	s_load_dwordx4 s[52:55], s[62:63], 0xe0
	s_load_dwordx8 s[44:51], s[62:63], 0xc0
	s_add_i32 s56, s56, 4
	s_waitcnt lgkmcnt(0)
	v_mul_hi_u32 v1, s37, v6
	v_add_u32_e32 v1, v6, v1
	v_lshrrev_b32_e32 v1, s38, v1
	v_mul_hi_u32 v5, s40, v1
	v_add_u32_e32 v5, v1, v5
	v_lshrrev_b32_e32 v5, s41, v5
	v_mul_lo_u32 v3, v1, s36
	v_mul_lo_u32 v8, v5, s39
	v_mul_hi_u32 v9, s43, v5
	v_sub_u32_e32 v3, v6, v3
	v_sub_u32_e32 v1, v1, v8
	v_add_u32_e32 v8, v5, v9
	v_mul_lo_u32 v6, v3, s44
	v_mul_lo_u32 v7, v3, s46
	;; [unrolled: 1-line block ×6, first 2 shown]
	v_lshrrev_b32_e32 v8, s0, v8
	v_add3_u32 v0, v3, v0, v1
	v_add3_u32 v1, v7, v4, v10
	v_mul_hi_u32 v4, s2, v8
	v_add_u32_e32 v4, v8, v4
	v_add3_u32 v2, v6, v2, v9
	v_lshrrev_b32_e32 v6, s3, v4
	v_mul_lo_u32 v3, v8, s42
	v_mul_lo_u32 v4, v6, s1
	s_add_u32 s62, s62, 48
	v_sub_u32_e32 v3, v5, v3
	v_sub_u32_e32 v4, v8, v4
	s_addc_u32 s63, s63, 0
	v_mul_lo_u32 v5, v3, s50
	v_mul_lo_u32 v7, v3, s51
	;; [unrolled: 1-line block ×6, first 2 shown]
	s_cmp_eq_u32 s20, s56
	v_add3_u32 v2, v5, v2, v8
	v_add3_u32 v4, v3, v1, v4
	;; [unrolled: 1-line block ×3, first 2 shown]
	s_cbranch_scc0 .LBB6_89
; %bb.90:
	v_mov_b32_e32 v1, v4
	s_and_b32 s2, s69, 3
	s_cmp_eq_u32 s2, 0
	s_cbranch_scc0 .LBB6_93
	s_branch .LBB6_95
.LBB6_91:
                                        ; implicit-def: $vgpr4
                                        ; implicit-def: $vgpr0
                                        ; implicit-def: $vgpr2
	s_branch .LBB6_96
.LBB6_92:
	v_mov_b32_e32 v0, 0
	s_mov_b32 s20, 0
	v_mov_b32_e32 v1, v0
                                        ; implicit-def: $vgpr4
	v_mov_b32_e32 v6, v14
	v_mov_b32_e32 v2, v0
	s_and_b32 s2, s69, 3
	s_cmp_eq_u32 s2, 0
	s_cbranch_scc1 .LBB6_95
.LBB6_93:
	s_mul_i32 s0, s20, 12
	s_add_u32 s0, s27, s0
	s_addc_u32 s1, s33, 0
	s_add_u32 s0, s0, 4
	s_addc_u32 s1, s1, 0
.LBB6_94:                               ; =>This Inner Loop Header: Depth=1
	s_load_dwordx2 s[36:37], s[0:1], 0x0
	s_load_dword s3, s[0:1], 0x8
	s_load_dwordx2 s[38:39], s[0:1], 0xc0
	s_load_dword s20, s[0:1], 0xc8
	v_mov_b32_e32 v4, v1
	s_waitcnt lgkmcnt(0)
	v_mul_hi_u32 v1, s37, v6
	v_add_u32_e32 v1, v6, v1
	v_lshrrev_b32_e32 v1, s3, v1
	v_mul_lo_u32 v3, v1, s36
	s_add_u32 s0, s0, 12
	v_sub_u32_e32 v7, v6, v3
	s_addc_u32 s1, s1, 0
	s_add_i32 s2, s2, -1
	v_mov_b32_e32 v6, v1
	v_mad_u64_u32 v[4:5], s[36:37], v7, s20, v[4:5]
	v_mad_u64_u32 v[0:1], s[36:37], v7, s39, v[0:1]
	s_cmp_lg_u32 s2, 0
	v_mad_u64_u32 v[2:3], s[36:37], v7, s38, v[2:3]
	v_mov_b32_e32 v1, v4
	s_cbranch_scc1 .LBB6_94
.LBB6_95:
	s_cbranch_execnz .LBB6_98
.LBB6_96:
	v_mul_hi_u32 v0, s22, v14
	v_add_u32_e32 v0, v14, v0
	v_lshrrev_b32_e32 v1, s23, v0
	v_mul_lo_u32 v0, v1, s21
	v_sub_u32_e32 v0, v14, v0
	v_mul_lo_u32 v2, v0, s28
	v_mul_lo_u32 v4, v0, s30
	s_andn2_b64 vcc, exec, s[60:61]
	v_mul_lo_u32 v0, v0, s29
	s_cbranch_vccnz .LBB6_98
; %bb.97:
	v_mul_hi_u32 v3, s25, v1
	v_add_u32_e32 v3, v1, v3
	v_lshrrev_b32_e32 v3, s26, v3
	v_mul_lo_u32 v3, v3, s24
	v_sub_u32_e32 v5, v1, v3
	v_mad_u64_u32 v[2:3], s[0:1], v5, s31, v[2:3]
	v_mad_u64_u32 v[0:1], s[0:1], v5, s34, v[0:1]
	;; [unrolled: 1-line block ×3, first 2 shown]
.LBB6_98:
	global_load_dwordx2 v[4:5], v4, s[8:9]
	v_mov_b64_e32 v[6:7], 0
	s_waitcnt vmcnt(0)
	v_cmp_lt_i64_e32 vcc, s[10:11], v[4:5]
	s_and_saveexec_b64 s[2:3], vcc
	s_cbranch_execz .LBB6_104
; %bb.99:
	v_mov_b32_e32 v1, s11
	v_subrev_co_u32_e32 v8, vcc, s10, v4
	v_mov_b32_e32 v10, 0
	s_nop 0
	v_subb_co_u32_e32 v9, vcc, v5, v1, vcc
	v_or_b32_e32 v11, s13, v9
	v_cmp_ne_u64_e32 vcc, 0, v[10:11]
                                        ; implicit-def: $vgpr6_vgpr7
	s_and_saveexec_b64 s[0:1], vcc
	s_xor_b64 s[8:9], exec, s[0:1]
	s_cbranch_execz .LBB6_101
; %bb.100:
	s_ashr_i32 s20, s13, 31
	s_add_u32 s0, s12, s20
	s_mov_b32 s21, s20
	s_addc_u32 s1, s13, s20
	s_xor_b64 s[22:23], s[0:1], s[20:21]
	v_cvt_f32_u32_e32 v1, s22
	v_cvt_f32_u32_e32 v3, s23
	s_sub_u32 s21, 0, s22
	s_subb_u32 s24, 0, s23
	v_ashrrev_i32_e32 v6, 31, v9
	v_fmamk_f32 v1, v3, 0x4f800000, v1
	v_rcp_f32_e32 v1, v1
	v_mov_b32_e32 v7, v6
	v_lshl_add_u64 v[8:9], v[8:9], 0, v[6:7]
	v_mov_b32_e32 v13, v10
	v_mul_f32_e32 v1, 0x5f7ffffc, v1
	v_mul_f32_e32 v3, 0x2f800000, v1
	v_trunc_f32_e32 v3, v3
	v_fmamk_f32 v1, v3, 0xcf800000, v1
	v_cvt_u32_f32_e32 v3, v3
	v_cvt_u32_f32_e32 v1, v1
	v_readfirstlane_b32 s25, v3
	v_readfirstlane_b32 s0, v1
	s_mul_i32 s1, s21, s25
	s_mul_hi_u32 s27, s21, s0
	s_mul_i32 s26, s24, s0
	s_add_i32 s1, s27, s1
	s_add_i32 s1, s1, s26
	s_mul_i32 s28, s21, s0
	s_mul_i32 s27, s0, s1
	s_mul_hi_u32 s29, s0, s28
	s_mul_hi_u32 s26, s0, s1
	s_add_u32 s27, s29, s27
	s_addc_u32 s26, 0, s26
	s_mul_hi_u32 s30, s25, s28
	s_mul_i32 s28, s25, s28
	s_add_u32 s27, s27, s28
	s_mul_hi_u32 s29, s25, s1
	s_addc_u32 s26, s26, s30
	s_addc_u32 s27, s29, 0
	s_mul_i32 s1, s25, s1
	s_add_u32 s1, s26, s1
	s_addc_u32 s26, 0, s27
	s_add_u32 s27, s0, s1
	s_cselect_b64 s[0:1], -1, 0
	s_cmp_lg_u64 s[0:1], 0
	s_addc_u32 s25, s25, s26
	s_mul_i32 s0, s21, s25
	s_mul_hi_u32 s1, s21, s27
	s_add_i32 s0, s1, s0
	s_mul_i32 s24, s24, s27
	s_add_i32 s0, s0, s24
	s_mul_i32 s21, s21, s27
	s_mul_hi_u32 s24, s25, s21
	s_mul_i32 s26, s25, s21
	s_mul_i32 s29, s27, s0
	s_mul_hi_u32 s21, s27, s21
	s_mul_hi_u32 s28, s27, s0
	s_add_u32 s21, s21, s29
	s_addc_u32 s28, 0, s28
	s_add_u32 s21, s21, s26
	s_mul_hi_u32 s1, s25, s0
	s_addc_u32 s21, s28, s24
	s_addc_u32 s1, s1, 0
	s_mul_i32 s0, s25, s0
	s_add_u32 s0, s21, s0
	s_addc_u32 s21, 0, s1
	s_add_u32 s24, s27, s0
	s_cselect_b64 s[0:1], -1, 0
	s_cmp_lg_u64 s[0:1], 0
	s_addc_u32 s21, s25, s21
	v_xor_b32_e32 v3, v8, v6
	v_xor_b32_e32 v1, v9, v6
	v_mad_u64_u32 v[8:9], s[0:1], v3, s21, 0
	v_mul_hi_u32 v12, v3, s24
	v_lshl_add_u64 v[8:9], v[12:13], 0, v[8:9]
	v_mad_u64_u32 v[14:15], s[0:1], v1, s24, 0
	v_add_co_u32_e32 v7, vcc, v8, v14
	v_mad_u64_u32 v[12:13], s[0:1], v1, s21, 0
	s_nop 0
	v_addc_co_u32_e32 v8, vcc, v9, v15, vcc
	v_mov_b32_e32 v9, v10
	s_nop 0
	v_addc_co_u32_e32 v13, vcc, 0, v13, vcc
	v_lshl_add_u64 v[8:9], v[8:9], 0, v[12:13]
	v_mul_lo_u32 v7, s23, v8
	v_mul_lo_u32 v12, s22, v9
	v_mad_u64_u32 v[10:11], s[0:1], s22, v8, 0
	v_add3_u32 v7, v11, v12, v7
	v_sub_u32_e32 v11, v1, v7
	v_mov_b32_e32 v12, s23
	v_sub_co_u32_e32 v3, vcc, v3, v10
	s_nop 1
	v_subb_co_u32_e64 v10, s[0:1], v11, v12, vcc
	v_subrev_co_u32_e64 v11, s[0:1], s22, v3
	v_subb_co_u32_e32 v1, vcc, v1, v7, vcc
	s_nop 0
	v_subbrev_co_u32_e64 v10, s[0:1], 0, v10, s[0:1]
	v_cmp_le_u32_e64 s[0:1], s23, v10
	v_cmp_le_u32_e32 vcc, s23, v1
	s_nop 0
	v_cndmask_b32_e64 v12, 0, -1, s[0:1]
	v_cmp_le_u32_e64 s[0:1], s22, v11
	v_cndmask_b32_e64 v7, 0, -1, vcc
	v_cmp_le_u32_e32 vcc, s22, v3
	v_cndmask_b32_e64 v11, 0, -1, s[0:1]
	v_cmp_eq_u32_e64 s[0:1], s23, v10
	v_cndmask_b32_e64 v3, 0, -1, vcc
	v_cmp_eq_u32_e32 vcc, s23, v1
	v_cndmask_b32_e64 v14, v12, v11, s[0:1]
	v_lshl_add_u64 v[10:11], v[8:9], 0, 2
	v_lshl_add_u64 v[12:13], v[8:9], 0, 1
	v_cmp_ne_u32_e64 s[0:1], 0, v14
	v_cndmask_b32_e32 v1, v7, v3, vcc
	v_cmp_ne_u32_e32 vcc, 0, v1
	v_cndmask_b32_e64 v3, v12, v10, s[0:1]
	v_cndmask_b32_e64 v11, v13, v11, s[0:1]
	v_cndmask_b32_e32 v3, v8, v3, vcc
	v_xor_b32_e32 v7, s20, v6
	v_cndmask_b32_e32 v1, v9, v11, vcc
	v_xor_b32_e32 v3, v3, v7
	v_xor_b32_e32 v1, v1, v7
	v_sub_co_u32_e32 v6, vcc, v3, v7
                                        ; implicit-def: $vgpr8
	s_nop 1
	v_subb_co_u32_e32 v7, vcc, v1, v7, vcc
.LBB6_101:
	s_andn2_saveexec_b64 s[0:1], s[8:9]
	s_cbranch_execz .LBB6_103
; %bb.102:
	v_cvt_f32_u32_e32 v1, s12
	s_sub_i32 s8, 0, s12
	v_rcp_iflag_f32_e32 v1, v1
	s_nop 0
	v_mul_f32_e32 v1, 0x4f7ffffe, v1
	v_cvt_u32_f32_e32 v1, v1
	v_mul_lo_u32 v3, s8, v1
	v_mul_hi_u32 v3, v1, v3
	v_add_u32_e32 v1, v1, v3
	v_mul_hi_u32 v1, v8, v1
	v_mul_lo_u32 v3, v1, s12
	v_sub_u32_e32 v3, v8, v3
	v_add_u32_e32 v6, 1, v1
	v_subrev_u32_e32 v7, s12, v3
	v_cmp_le_u32_e32 vcc, s12, v3
	s_nop 1
	v_cndmask_b32_e32 v3, v3, v7, vcc
	v_cndmask_b32_e32 v1, v1, v6, vcc
	v_add_u32_e32 v6, 1, v1
	v_cmp_le_u32_e32 vcc, s12, v3
	v_mov_b32_e32 v7, 0
	s_nop 0
	v_cndmask_b32_e32 v6, v1, v6, vcc
.LBB6_103:
	s_or_b64 exec, exec, s[0:1]
.LBB6_104:
	s_or_b64 exec, exec, s[2:3]
	v_or_b32_e32 v9, s13, v5
	v_mov_b32_e32 v8, 0
	v_cmp_ne_u64_e32 vcc, 0, v[8:9]
                                        ; implicit-def: $vgpr10_vgpr11
	s_and_saveexec_b64 s[0:1], vcc
	s_xor_b64 s[2:3], exec, s[0:1]
	s_cbranch_execz .LBB6_106
; %bb.105:
	s_ashr_i32 s8, s13, 31
	s_add_u32 s0, s12, s8
	s_mov_b32 s9, s8
	s_addc_u32 s1, s13, s8
	s_xor_b64 s[20:21], s[0:1], s[8:9]
	v_cvt_f32_u32_e32 v1, s20
	v_cvt_f32_u32_e32 v3, s21
	s_sub_u32 s9, 0, s20
	s_subb_u32 s22, 0, s21
	v_ashrrev_i32_e32 v10, 31, v5
	v_fmamk_f32 v1, v3, 0x4f800000, v1
	v_rcp_f32_e32 v1, v1
	v_mov_b32_e32 v11, v10
	v_lshl_add_u64 v[12:13], v[4:5], 0, v[10:11]
	v_mov_b32_e32 v15, v8
	v_mul_f32_e32 v1, 0x5f7ffffc, v1
	v_mul_f32_e32 v3, 0x2f800000, v1
	v_trunc_f32_e32 v3, v3
	v_fmamk_f32 v1, v3, 0xcf800000, v1
	v_cvt_u32_f32_e32 v3, v3
	v_cvt_u32_f32_e32 v1, v1
	v_readfirstlane_b32 s23, v3
	v_readfirstlane_b32 s0, v1
	s_mul_i32 s1, s9, s23
	s_mul_hi_u32 s25, s9, s0
	s_mul_i32 s24, s22, s0
	s_add_i32 s1, s25, s1
	s_add_i32 s1, s1, s24
	s_mul_i32 s26, s9, s0
	s_mul_i32 s25, s0, s1
	s_mul_hi_u32 s27, s0, s26
	s_mul_hi_u32 s24, s0, s1
	s_add_u32 s25, s27, s25
	s_addc_u32 s24, 0, s24
	s_mul_hi_u32 s28, s23, s26
	s_mul_i32 s26, s23, s26
	s_add_u32 s25, s25, s26
	s_mul_hi_u32 s27, s23, s1
	s_addc_u32 s24, s24, s28
	s_addc_u32 s25, s27, 0
	s_mul_i32 s1, s23, s1
	s_add_u32 s1, s24, s1
	s_addc_u32 s24, 0, s25
	s_add_u32 s25, s0, s1
	s_cselect_b64 s[0:1], -1, 0
	s_cmp_lg_u64 s[0:1], 0
	s_addc_u32 s23, s23, s24
	s_mul_i32 s0, s9, s23
	s_mul_hi_u32 s1, s9, s25
	s_add_i32 s0, s1, s0
	s_mul_i32 s22, s22, s25
	s_add_i32 s0, s0, s22
	s_mul_i32 s9, s9, s25
	s_mul_hi_u32 s22, s23, s9
	s_mul_i32 s24, s23, s9
	s_mul_i32 s27, s25, s0
	s_mul_hi_u32 s9, s25, s9
	s_mul_hi_u32 s26, s25, s0
	s_add_u32 s9, s9, s27
	s_addc_u32 s26, 0, s26
	s_add_u32 s9, s9, s24
	s_mul_hi_u32 s1, s23, s0
	s_addc_u32 s9, s26, s22
	s_addc_u32 s1, s1, 0
	s_mul_i32 s0, s23, s0
	s_add_u32 s0, s9, s0
	s_addc_u32 s9, 0, s1
	s_add_u32 s22, s25, s0
	s_cselect_b64 s[0:1], -1, 0
	s_cmp_lg_u64 s[0:1], 0
	s_addc_u32 s9, s23, s9
	v_xor_b32_e32 v3, v12, v10
	v_xor_b32_e32 v1, v13, v10
	v_mad_u64_u32 v[12:13], s[0:1], v3, s9, 0
	v_mul_hi_u32 v14, v3, s22
	v_lshl_add_u64 v[12:13], v[14:15], 0, v[12:13]
	v_mad_u64_u32 v[16:17], s[0:1], v1, s22, 0
	v_add_co_u32_e32 v9, vcc, v12, v16
	v_mad_u64_u32 v[14:15], s[0:1], v1, s9, 0
	s_nop 0
	v_addc_co_u32_e32 v12, vcc, v13, v17, vcc
	v_mov_b32_e32 v13, v8
	s_nop 0
	v_addc_co_u32_e32 v15, vcc, 0, v15, vcc
	v_lshl_add_u64 v[8:9], v[12:13], 0, v[14:15]
	v_mul_lo_u32 v11, s21, v8
	v_mul_lo_u32 v14, s20, v9
	v_mad_u64_u32 v[12:13], s[0:1], s20, v8, 0
	v_add3_u32 v11, v13, v14, v11
	v_sub_u32_e32 v13, v1, v11
	v_mov_b32_e32 v14, s21
	v_sub_co_u32_e32 v3, vcc, v3, v12
	s_nop 1
	v_subb_co_u32_e64 v12, s[0:1], v13, v14, vcc
	v_subrev_co_u32_e64 v13, s[0:1], s20, v3
	v_subb_co_u32_e32 v1, vcc, v1, v11, vcc
	s_nop 0
	v_subbrev_co_u32_e64 v12, s[0:1], 0, v12, s[0:1]
	v_cmp_le_u32_e64 s[0:1], s21, v12
	v_cmp_le_u32_e32 vcc, s21, v1
	s_nop 0
	v_cndmask_b32_e64 v14, 0, -1, s[0:1]
	v_cmp_le_u32_e64 s[0:1], s20, v13
	v_cndmask_b32_e64 v11, 0, -1, vcc
	v_cmp_le_u32_e32 vcc, s20, v3
	v_cndmask_b32_e64 v13, 0, -1, s[0:1]
	v_cmp_eq_u32_e64 s[0:1], s21, v12
	v_cndmask_b32_e64 v3, 0, -1, vcc
	v_cmp_eq_u32_e32 vcc, s21, v1
	v_cndmask_b32_e64 v16, v14, v13, s[0:1]
	v_lshl_add_u64 v[12:13], v[8:9], 0, 2
	v_lshl_add_u64 v[14:15], v[8:9], 0, 1
	v_cmp_ne_u32_e64 s[0:1], 0, v16
	v_cndmask_b32_e32 v1, v11, v3, vcc
	v_cmp_ne_u32_e32 vcc, 0, v1
	v_cndmask_b32_e64 v3, v14, v12, s[0:1]
	v_cndmask_b32_e64 v13, v15, v13, s[0:1]
	v_cndmask_b32_e32 v3, v8, v3, vcc
	v_xor_b32_e32 v8, s8, v10
	v_cndmask_b32_e32 v1, v9, v13, vcc
	v_xor_b32_e32 v3, v3, v8
	v_xor_b32_e32 v1, v1, v8
	v_sub_co_u32_e32 v10, vcc, v3, v8
	s_nop 1
	v_subb_co_u32_e32 v11, vcc, v1, v8, vcc
.LBB6_106:
	s_andn2_saveexec_b64 s[0:1], s[2:3]
	s_cbranch_execz .LBB6_108
; %bb.107:
	v_cvt_f32_u32_e32 v1, s12
	s_sub_i32 s2, 0, s12
	v_mov_b32_e32 v11, 0
	v_rcp_iflag_f32_e32 v1, v1
	s_nop 0
	v_mul_f32_e32 v1, 0x4f7ffffe, v1
	v_cvt_u32_f32_e32 v1, v1
	v_mul_lo_u32 v3, s2, v1
	v_mul_hi_u32 v3, v1, v3
	v_add_u32_e32 v1, v1, v3
	v_mul_hi_u32 v1, v4, v1
	v_mul_lo_u32 v3, v1, s12
	v_sub_u32_e32 v3, v4, v3
	v_add_u32_e32 v8, 1, v1
	v_subrev_u32_e32 v9, s12, v3
	v_cmp_le_u32_e32 vcc, s12, v3
	s_nop 1
	v_cndmask_b32_e32 v3, v3, v9, vcc
	v_cndmask_b32_e32 v1, v1, v8, vcc
	v_add_u32_e32 v8, 1, v1
	v_cmp_le_u32_e32 vcc, s12, v3
	s_nop 1
	v_cndmask_b32_e32 v10, v1, v8, vcc
.LBB6_108:
	s_or_b64 exec, exec, s[0:1]
	v_mul_lo_u32 v1, v7, s12
	v_mul_lo_u32 v3, v6, s13
	v_mad_u64_u32 v[8:9], s[0:1], v6, s12, 0
	v_add3_u32 v9, v9, v3, v1
	v_cmp_gt_i64_e32 vcc, v[8:9], v[4:5]
	v_mov_b64_e32 v[8:9], s[10:11]
	v_mad_u64_u32 v[8:9], s[0:1], v6, s12, v[8:9]
	v_add3_u32 v9, v1, v9, v3
	v_cmp_ge_i64_e64 s[0:1], v[4:5], v[8:9]
	s_or_b64 s[0:1], vcc, s[0:1]
	v_mov_b32_e32 v1, s15
	v_cndmask_b32_e64 v8, 0, 1, s[0:1]
	s_mov_b32 s0, 0
	v_mov_b32_e32 v9, s0
	v_cmp_gt_i64_e32 vcc, s[14:15], v[10:11]
	v_lshl_add_u64 v[12:13], v[6:7], 0, v[8:9]
	s_nop 0
	v_cndmask_b32_e32 v7, v1, v11, vcc
	v_mov_b32_e32 v1, s14
	v_cndmask_b32_e32 v6, v1, v10, vcc
	v_cmp_le_i64_e32 vcc, v[12:13], v[6:7]
	s_and_b64 exec, exec, vcc
	s_cbranch_execz .LBB6_111
; %bb.109:
	global_load_dword v10, v2, s[4:5]
	v_mul_lo_u32 v11, s13, v12
	v_mul_lo_u32 v16, s12, v13
	v_mad_u64_u32 v[14:15], s[0:1], s12, v12, 0
	v_add3_u32 v11, v15, v16, v11
	v_sub_co_u32_e32 v4, vcc, v4, v14
	v_mov_b32_e32 v3, 0
	s_nop 0
	v_subb_co_u32_e32 v5, vcc, v5, v11, vcc
	v_mul_lo_u32 v11, s19, v4
	v_mul_lo_u32 v14, s18, v5
	v_mad_u64_u32 v[4:5], s[0:1], s18, v4, 0
	v_lshl_add_u64 v[8:9], s[4:5], 0, v[2:3]
	v_mov_b32_e32 v1, v3
	v_lshl_add_u64 v[2:3], v[12:13], 0, -1
	v_add3_u32 v5, v5, v14, v11
	v_mul_lo_u32 v11, s17, v12
	v_mul_lo_u32 v14, s16, v13
	v_mad_u64_u32 v[12:13], s[0:1], s16, v12, 0
	s_mul_i32 s2, s12, s19
	s_mul_hi_u32 s3, s12, s18
	v_add3_u32 v13, v13, v14, v11
	s_add_i32 s2, s3, s2
	s_mul_i32 s3, s13, s18
	v_lshlrev_b64 v[12:13], 2, v[12:13]
	s_add_i32 s3, s2, s3
	s_mul_i32 s2, s12, s18
	v_lshl_add_u64 v[4:5], v[4:5], 2, v[12:13]
	s_lshl_b64 s[0:1], s[16:17], 2
	s_lshl_b64 s[2:3], s[2:3], 2
	v_lshl_add_u64 v[0:1], v[4:5], 0, v[0:1]
	s_sub_u32 s0, s0, s2
	v_lshl_add_u64 v[0:1], s[6:7], 0, v[0:1]
	s_subb_u32 s1, s1, s3
	s_mov_b64 s[2:3], 0
.LBB6_110:                              ; =>This Inner Loop Header: Depth=1
	global_load_dword v4, v[0:1], off
	v_lshl_add_u64 v[2:3], v[2:3], 0, 1
	v_cmp_ge_i64_e32 vcc, v[2:3], v[6:7]
	v_lshl_add_u64 v[0:1], v[0:1], 0, s[0:1]
	s_or_b64 s[2:3], vcc, s[2:3]
	s_waitcnt vmcnt(0)
	v_add_f32_e32 v10, v10, v4
	global_store_dword v[8:9], v10, off
	s_andn2_b64 exec, exec, s[2:3]
	s_cbranch_execnz .LBB6_110
.LBB6_111:
	s_endpgm
	.section	.rodata,"a",@progbits
	.p2align	6, 0x0
	.amdhsa_kernel _ZN2at6native12_GLOBAL__N_135_unfold_backward_elementwise_kernelILi256ELi4EZNS1_32_unfold_backward_internal_kernelIfEEvRNS_14TensorIteratorEllllllEUliE_EEviT1_
		.amdhsa_group_segment_fixed_size 0
		.amdhsa_private_segment_fixed_size 0
		.amdhsa_kernarg_size 464
		.amdhsa_user_sgpr_count 2
		.amdhsa_user_sgpr_dispatch_ptr 0
		.amdhsa_user_sgpr_queue_ptr 0
		.amdhsa_user_sgpr_kernarg_segment_ptr 1
		.amdhsa_user_sgpr_dispatch_id 0
		.amdhsa_user_sgpr_kernarg_preload_length 0
		.amdhsa_user_sgpr_kernarg_preload_offset 0
		.amdhsa_user_sgpr_private_segment_size 0
		.amdhsa_uses_dynamic_stack 0
		.amdhsa_enable_private_segment 0
		.amdhsa_system_sgpr_workgroup_id_x 1
		.amdhsa_system_sgpr_workgroup_id_y 0
		.amdhsa_system_sgpr_workgroup_id_z 0
		.amdhsa_system_sgpr_workgroup_info 0
		.amdhsa_system_vgpr_workitem_id 0
		.amdhsa_next_free_vgpr 20
		.amdhsa_next_free_sgpr 73
		.amdhsa_accum_offset 20
		.amdhsa_reserve_vcc 1
		.amdhsa_float_round_mode_32 0
		.amdhsa_float_round_mode_16_64 0
		.amdhsa_float_denorm_mode_32 3
		.amdhsa_float_denorm_mode_16_64 3
		.amdhsa_dx10_clamp 1
		.amdhsa_ieee_mode 1
		.amdhsa_fp16_overflow 0
		.amdhsa_tg_split 0
		.amdhsa_exception_fp_ieee_invalid_op 0
		.amdhsa_exception_fp_denorm_src 0
		.amdhsa_exception_fp_ieee_div_zero 0
		.amdhsa_exception_fp_ieee_overflow 0
		.amdhsa_exception_fp_ieee_underflow 0
		.amdhsa_exception_fp_ieee_inexact 0
		.amdhsa_exception_int_div_zero 0
	.end_amdhsa_kernel
	.section	.text._ZN2at6native12_GLOBAL__N_135_unfold_backward_elementwise_kernelILi256ELi4EZNS1_32_unfold_backward_internal_kernelIfEEvRNS_14TensorIteratorEllllllEUliE_EEviT1_,"axG",@progbits,_ZN2at6native12_GLOBAL__N_135_unfold_backward_elementwise_kernelILi256ELi4EZNS1_32_unfold_backward_internal_kernelIfEEvRNS_14TensorIteratorEllllllEUliE_EEviT1_,comdat
.Lfunc_end6:
	.size	_ZN2at6native12_GLOBAL__N_135_unfold_backward_elementwise_kernelILi256ELi4EZNS1_32_unfold_backward_internal_kernelIfEEvRNS_14TensorIteratorEllllllEUliE_EEviT1_, .Lfunc_end6-_ZN2at6native12_GLOBAL__N_135_unfold_backward_elementwise_kernelILi256ELi4EZNS1_32_unfold_backward_internal_kernelIfEEvRNS_14TensorIteratorEllllllEUliE_EEviT1_
                                        ; -- End function
	.set _ZN2at6native12_GLOBAL__N_135_unfold_backward_elementwise_kernelILi256ELi4EZNS1_32_unfold_backward_internal_kernelIfEEvRNS_14TensorIteratorEllllllEUliE_EEviT1_.num_vgpr, 20
	.set _ZN2at6native12_GLOBAL__N_135_unfold_backward_elementwise_kernelILi256ELi4EZNS1_32_unfold_backward_internal_kernelIfEEvRNS_14TensorIteratorEllllllEUliE_EEviT1_.num_agpr, 0
	.set _ZN2at6native12_GLOBAL__N_135_unfold_backward_elementwise_kernelILi256ELi4EZNS1_32_unfold_backward_internal_kernelIfEEvRNS_14TensorIteratorEllllllEUliE_EEviT1_.numbered_sgpr, 73
	.set _ZN2at6native12_GLOBAL__N_135_unfold_backward_elementwise_kernelILi256ELi4EZNS1_32_unfold_backward_internal_kernelIfEEvRNS_14TensorIteratorEllllllEUliE_EEviT1_.num_named_barrier, 0
	.set _ZN2at6native12_GLOBAL__N_135_unfold_backward_elementwise_kernelILi256ELi4EZNS1_32_unfold_backward_internal_kernelIfEEvRNS_14TensorIteratorEllllllEUliE_EEviT1_.private_seg_size, 0
	.set _ZN2at6native12_GLOBAL__N_135_unfold_backward_elementwise_kernelILi256ELi4EZNS1_32_unfold_backward_internal_kernelIfEEvRNS_14TensorIteratorEllllllEUliE_EEviT1_.uses_vcc, 1
	.set _ZN2at6native12_GLOBAL__N_135_unfold_backward_elementwise_kernelILi256ELi4EZNS1_32_unfold_backward_internal_kernelIfEEvRNS_14TensorIteratorEllllllEUliE_EEviT1_.uses_flat_scratch, 0
	.set _ZN2at6native12_GLOBAL__N_135_unfold_backward_elementwise_kernelILi256ELi4EZNS1_32_unfold_backward_internal_kernelIfEEvRNS_14TensorIteratorEllllllEUliE_EEviT1_.has_dyn_sized_stack, 0
	.set _ZN2at6native12_GLOBAL__N_135_unfold_backward_elementwise_kernelILi256ELi4EZNS1_32_unfold_backward_internal_kernelIfEEvRNS_14TensorIteratorEllllllEUliE_EEviT1_.has_recursion, 0
	.set _ZN2at6native12_GLOBAL__N_135_unfold_backward_elementwise_kernelILi256ELi4EZNS1_32_unfold_backward_internal_kernelIfEEvRNS_14TensorIteratorEllllllEUliE_EEviT1_.has_indirect_call, 0
	.section	.AMDGPU.csdata,"",@progbits
; Kernel info:
; codeLenInByte = 11028
; TotalNumSgprs: 79
; NumVgprs: 20
; NumAgprs: 0
; TotalNumVgprs: 20
; ScratchSize: 0
; MemoryBound: 0
; FloatMode: 240
; IeeeMode: 1
; LDSByteSize: 0 bytes/workgroup (compile time only)
; SGPRBlocks: 9
; VGPRBlocks: 2
; NumSGPRsForWavesPerEU: 79
; NumVGPRsForWavesPerEU: 20
; AccumOffset: 20
; Occupancy: 8
; WaveLimiterHint : 1
; COMPUTE_PGM_RSRC2:SCRATCH_EN: 0
; COMPUTE_PGM_RSRC2:USER_SGPR: 2
; COMPUTE_PGM_RSRC2:TRAP_HANDLER: 0
; COMPUTE_PGM_RSRC2:TGID_X_EN: 1
; COMPUTE_PGM_RSRC2:TGID_Y_EN: 0
; COMPUTE_PGM_RSRC2:TGID_Z_EN: 0
; COMPUTE_PGM_RSRC2:TIDIG_COMP_CNT: 0
; COMPUTE_PGM_RSRC3_GFX90A:ACCUM_OFFSET: 4
; COMPUTE_PGM_RSRC3_GFX90A:TG_SPLIT: 0
	.section	.text._ZN2at6native12_GLOBAL__N_135_unfold_backward_elementwise_kernelILi256ELi4EZNS1_32_unfold_backward_internal_kernelIN3c107complexIdEEEEvRNS_14TensorIteratorEllllllEUliE_EEviT1_,"axG",@progbits,_ZN2at6native12_GLOBAL__N_135_unfold_backward_elementwise_kernelILi256ELi4EZNS1_32_unfold_backward_internal_kernelIN3c107complexIdEEEEvRNS_14TensorIteratorEllllllEUliE_EEviT1_,comdat
	.globl	_ZN2at6native12_GLOBAL__N_135_unfold_backward_elementwise_kernelILi256ELi4EZNS1_32_unfold_backward_internal_kernelIN3c107complexIdEEEEvRNS_14TensorIteratorEllllllEUliE_EEviT1_ ; -- Begin function _ZN2at6native12_GLOBAL__N_135_unfold_backward_elementwise_kernelILi256ELi4EZNS1_32_unfold_backward_internal_kernelIN3c107complexIdEEEEvRNS_14TensorIteratorEllllllEUliE_EEviT1_
	.p2align	8
	.type	_ZN2at6native12_GLOBAL__N_135_unfold_backward_elementwise_kernelILi256ELi4EZNS1_32_unfold_backward_internal_kernelIN3c107complexIdEEEEvRNS_14TensorIteratorEllllllEUliE_EEviT1_,@function
_ZN2at6native12_GLOBAL__N_135_unfold_backward_elementwise_kernelILi256ELi4EZNS1_32_unfold_backward_internal_kernelIN3c107complexIdEEEEvRNS_14TensorIteratorEllllllEUliE_EEviT1_: ; @_ZN2at6native12_GLOBAL__N_135_unfold_backward_elementwise_kernelILi256ELi4EZNS1_32_unfold_backward_internal_kernelIN3c107complexIdEEEEvRNS_14TensorIteratorEllllllEUliE_EEviT1_
; %bb.0:
	s_load_dword s70, s[0:1], 0x0
	s_load_dwordx8 s[20:27], s[0:1], 0x8
	v_lshl_or_b32 v16, s2, 10, v0
	s_waitcnt lgkmcnt(0)
	s_add_u32 s27, s0, 8
	s_load_dwordx16 s[4:19], s[0:1], 0x190
	s_load_dwordx4 s[28:31], s[0:1], 0xcc
	s_load_dwordx2 s[34:35], s[0:1], 0xdc
	s_addc_u32 s33, s1, 0
	v_sub_co_u32_e64 v0, s[2:3], s20, 1
	s_nop 0
	v_readfirstlane_b32 s68, v0
	s_xor_b64 s[64:65], s[2:3], -1
	s_or_b32 s62, s0, 12
	s_min_u32 s69, s68, 15
	s_mov_b32 s63, s1
	s_cmp_gt_u32 s20, 1
	v_cmp_lt_u32_e64 s[0:1], 1, v0
	s_cselect_b64 s[60:61], -1, 0
	s_waitcnt lgkmcnt(0)
	s_add_u32 s14, s14, -1
	v_cndmask_b32_e64 v0, 0, 1, s[0:1]
	s_mov_b64 s[2:3], -1
	s_addc_u32 s15, s15, -1
	v_cmp_gt_i32_e32 vcc, s70, v16
	v_cmp_ne_u32_e64 s[0:1], 1, v0
	s_and_saveexec_b64 s[66:67], vcc
	s_cbranch_execnz .LBB7_4
; %bb.1:
	s_or_b64 exec, exec, s[66:67]
	v_cmp_gt_i32_e32 vcc, s70, v16
	s_and_saveexec_b64 s[66:67], vcc
	s_cbranch_execnz .LBB7_31
.LBB7_2:
	s_or_b64 exec, exec, s[66:67]
	v_cmp_gt_i32_e32 vcc, s70, v16
	s_and_saveexec_b64 s[66:67], vcc
	s_cbranch_execnz .LBB7_58
.LBB7_3:
	s_or_b64 exec, exec, s[66:67]
	v_cmp_gt_i32_e32 vcc, s70, v16
	s_and_saveexec_b64 s[2:3], vcc
	s_cbranch_execnz .LBB7_85
	s_branch .LBB7_111
.LBB7_4:
	s_and_b64 vcc, exec, s[0:1]
                                        ; implicit-def: $vgpr0
                                        ; implicit-def: $vgpr4
                                        ; implicit-def: $vgpr6
	s_cbranch_vccnz .LBB7_14
; %bb.5:
	v_mov_b32_e32 v0, 0
	s_andn2_b64 vcc, exec, s[64:65]
	v_mov_b32_e32 v4, 0
	v_mov_b32_e32 v6, 0
	s_cbranch_vccnz .LBB7_13
; %bb.6:
	s_add_i32 s71, s69, 1
	s_cmp_eq_u32 s68, 2
	s_cbranch_scc1 .LBB7_10
; %bb.7:
	s_and_b32 s20, s71, 28
	v_mov_b32_e32 v6, 0
	s_mov_b32 s72, 0
	s_mov_b64 s[2:3], s[62:63]
	v_mov_b32_e32 v2, v16
	v_mov_b32_e32 v4, 0
	;; [unrolled: 1-line block ×3, first 2 shown]
.LBB7_8:                                ; =>This Inner Loop Header: Depth=1
	s_load_dwordx8 s[36:43], s[2:3], 0x0
	s_load_dwordx4 s[52:55], s[2:3], 0x20
	s_load_dwordx4 s[56:59], s[2:3], 0xe0
	s_load_dwordx8 s[44:51], s[2:3], 0xc0
	s_add_i32 s72, s72, 4
	s_waitcnt lgkmcnt(0)
	v_mul_hi_u32 v1, s37, v2
	v_add_u32_e32 v1, v2, v1
	v_lshrrev_b32_e32 v1, s38, v1
	v_mul_lo_u32 v3, v1, s36
	v_mul_hi_u32 v5, s40, v1
	v_sub_u32_e32 v2, v2, v3
	v_add_u32_e32 v3, v1, v5
	v_lshrrev_b32_e32 v3, s41, v3
	v_mul_lo_u32 v8, v3, s39
	v_mul_hi_u32 v9, s43, v3
	v_sub_u32_e32 v1, v1, v8
	v_add_u32_e32 v8, v3, v9
	v_mul_lo_u32 v5, v2, s44
	v_mul_lo_u32 v7, v2, s46
	;; [unrolled: 1-line block ×6, first 2 shown]
	v_lshrrev_b32_e32 v8, s52, v8
	v_add3_u32 v1, v2, v4, v1
	v_mul_lo_u32 v2, v8, s42
	v_mul_hi_u32 v4, s54, v8
	v_sub_u32_e32 v2, v3, v2
	v_add_u32_e32 v3, v8, v4
	v_add3_u32 v5, v5, v6, v9
	v_add3_u32 v0, v7, v0, v10
	v_mul_lo_u32 v4, v2, s50
	v_mul_lo_u32 v7, v2, s51
	v_mul_lo_u32 v9, v2, s56
	v_lshrrev_b32_e32 v2, s55, v3
	v_mul_lo_u32 v3, v2, s53
	s_add_u32 s2, s2, 48
	v_sub_u32_e32 v3, v8, v3
	s_addc_u32 s3, s3, 0
	v_mul_lo_u32 v6, v3, s57
	v_mul_lo_u32 v8, v3, s58
	v_mul_lo_u32 v3, v3, s59
	s_cmp_lg_u32 s20, s72
	v_add3_u32 v6, v4, v5, v6
	v_add3_u32 v0, v9, v0, v3
	;; [unrolled: 1-line block ×3, first 2 shown]
	s_cbranch_scc1 .LBB7_8
; %bb.9:
	v_mov_b32_e32 v1, v0
	s_and_b32 s36, s71, 3
	s_cmp_eq_u32 s36, 0
	s_cbranch_scc0 .LBB7_11
	s_branch .LBB7_13
.LBB7_10:
	v_mov_b32_e32 v4, 0
	s_mov_b32 s20, 0
	v_mov_b32_e32 v1, v4
                                        ; implicit-def: $vgpr0
	v_mov_b32_e32 v2, v16
	v_mov_b32_e32 v6, v4
	s_and_b32 s36, s71, 3
	s_cmp_eq_u32 s36, 0
	s_cbranch_scc1 .LBB7_13
.LBB7_11:
	s_mul_i32 s2, s20, 12
	s_add_u32 s2, s27, s2
	s_addc_u32 s3, s33, 0
	s_add_u32 s2, s2, 4
	s_addc_u32 s3, s3, 0
.LBB7_12:                               ; =>This Inner Loop Header: Depth=1
	s_load_dwordx2 s[38:39], s[2:3], 0x0
	s_load_dword s20, s[2:3], 0x8
	s_load_dwordx2 s[40:41], s[2:3], 0xc0
	s_load_dword s37, s[2:3], 0xc8
	v_mov_b32_e32 v0, v1
	s_waitcnt lgkmcnt(0)
	v_mul_hi_u32 v1, s39, v2
	v_add_u32_e32 v1, v2, v1
	v_lshrrev_b32_e32 v1, s20, v1
	v_mul_lo_u32 v3, v1, s38
	s_add_u32 s2, s2, 12
	v_sub_u32_e32 v3, v2, v3
	s_addc_u32 s3, s3, 0
	s_add_i32 s36, s36, -1
	v_mov_b32_e32 v2, v1
	v_mad_u64_u32 v[0:1], s[38:39], v3, s37, v[0:1]
	s_cmp_lg_u32 s36, 0
	v_mad_u64_u32 v[6:7], s[38:39], v3, s40, v[6:7]
	v_mad_u64_u32 v[4:5], s[38:39], v3, s41, v[4:5]
	v_mov_b32_e32 v1, v0
	s_cbranch_scc1 .LBB7_12
.LBB7_13:
	s_mov_b64 s[2:3], 0
.LBB7_14:
	s_andn2_b64 vcc, exec, s[2:3]
	s_cbranch_vccnz .LBB7_17
; %bb.15:
	v_mul_hi_u32 v0, s22, v16
	v_add_u32_e32 v0, v16, v0
	v_lshrrev_b32_e32 v1, s23, v0
	v_mul_lo_u32 v0, v1, s21
	v_sub_u32_e32 v2, v16, v0
	v_mul_lo_u32 v6, v2, s28
	v_mul_lo_u32 v0, v2, s30
	s_andn2_b64 vcc, exec, s[60:61]
	v_mul_lo_u32 v4, v2, s29
	s_cbranch_vccnz .LBB7_17
; %bb.16:
	v_mul_hi_u32 v2, s25, v1
	v_add_u32_e32 v2, v1, v2
	v_lshrrev_b32_e32 v2, s26, v2
	v_mul_lo_u32 v2, v2, s24
	v_sub_u32_e32 v1, v1, v2
	v_mad_u64_u32 v[6:7], s[2:3], v1, s31, v[6:7]
	v_mad_u64_u32 v[4:5], s[2:3], v1, s34, v[4:5]
	;; [unrolled: 1-line block ×3, first 2 shown]
.LBB7_17:
	global_load_dwordx2 v[8:9], v0, s[8:9]
	v_mov_b64_e32 v[0:1], 0
	s_waitcnt vmcnt(0)
	v_cmp_lt_i64_e32 vcc, s[10:11], v[8:9]
	s_and_saveexec_b64 s[36:37], vcc
	s_cbranch_execz .LBB7_23
; %bb.18:
	v_mov_b32_e32 v0, s11
	v_subrev_co_u32_e32 v2, vcc, s10, v8
	v_mov_b32_e32 v10, 0
	s_nop 0
	v_subb_co_u32_e32 v3, vcc, v9, v0, vcc
	v_or_b32_e32 v11, s13, v3
	v_cmp_ne_u64_e32 vcc, 0, v[10:11]
                                        ; implicit-def: $vgpr0_vgpr1
	s_and_saveexec_b64 s[2:3], vcc
	s_xor_b64 s[38:39], exec, s[2:3]
	s_cbranch_execz .LBB7_20
; %bb.19:
	s_ashr_i32 s40, s13, 31
	s_add_u32 s2, s12, s40
	s_mov_b32 s41, s40
	s_addc_u32 s3, s13, s40
	s_xor_b64 s[42:43], s[2:3], s[40:41]
	v_cvt_f32_u32_e32 v0, s42
	v_cvt_f32_u32_e32 v1, s43
	s_sub_u32 s20, 0, s42
	s_subb_u32 s41, 0, s43
	v_mov_b32_e32 v13, v10
	v_fmamk_f32 v0, v1, 0x4f800000, v0
	v_rcp_f32_e32 v0, v0
	s_nop 0
	v_mul_f32_e32 v0, 0x5f7ffffc, v0
	v_mul_f32_e32 v1, 0x2f800000, v0
	v_trunc_f32_e32 v1, v1
	v_fmamk_f32 v0, v1, 0xcf800000, v0
	v_cvt_u32_f32_e32 v1, v1
	v_cvt_u32_f32_e32 v0, v0
	v_readfirstlane_b32 s44, v1
	v_readfirstlane_b32 s2, v0
	s_mul_i32 s3, s20, s44
	s_mul_hi_u32 s46, s20, s2
	s_mul_i32 s45, s41, s2
	s_add_i32 s3, s46, s3
	s_add_i32 s3, s3, s45
	s_mul_i32 s47, s20, s2
	s_mul_i32 s46, s2, s3
	s_mul_hi_u32 s48, s2, s47
	s_mul_hi_u32 s45, s2, s3
	s_add_u32 s46, s48, s46
	s_addc_u32 s45, 0, s45
	s_mul_hi_u32 s49, s44, s47
	s_mul_i32 s47, s44, s47
	s_add_u32 s46, s46, s47
	s_mul_hi_u32 s48, s44, s3
	s_addc_u32 s45, s45, s49
	s_addc_u32 s46, s48, 0
	s_mul_i32 s3, s44, s3
	s_add_u32 s3, s45, s3
	s_addc_u32 s45, 0, s46
	s_add_u32 s46, s2, s3
	s_cselect_b64 s[2:3], -1, 0
	s_cmp_lg_u64 s[2:3], 0
	s_addc_u32 s44, s44, s45
	s_mul_i32 s2, s20, s44
	s_mul_hi_u32 s3, s20, s46
	s_add_i32 s2, s3, s2
	s_mul_i32 s41, s41, s46
	s_add_i32 s2, s2, s41
	s_mul_i32 s20, s20, s46
	s_mul_hi_u32 s41, s44, s20
	s_mul_i32 s45, s44, s20
	s_mul_i32 s48, s46, s2
	s_mul_hi_u32 s20, s46, s20
	s_mul_hi_u32 s47, s46, s2
	s_add_u32 s20, s20, s48
	s_addc_u32 s47, 0, s47
	s_add_u32 s20, s20, s45
	s_mul_hi_u32 s3, s44, s2
	s_addc_u32 s20, s47, s41
	s_addc_u32 s3, s3, 0
	s_mul_i32 s2, s44, s2
	s_add_u32 s2, s20, s2
	s_addc_u32 s20, 0, s3
	s_add_u32 s41, s46, s2
	v_ashrrev_i32_e32 v0, 31, v3
	s_cselect_b64 s[2:3], -1, 0
	v_mov_b32_e32 v1, v0
	s_cmp_lg_u64 s[2:3], 0
	v_lshl_add_u64 v[2:3], v[2:3], 0, v[0:1]
	s_addc_u32 s20, s44, s20
	v_xor_b32_e32 v5, v2, v0
	v_xor_b32_e32 v1, v3, v0
	v_mad_u64_u32 v[2:3], s[2:3], v5, s20, 0
	v_mul_hi_u32 v12, v5, s41
	v_lshl_add_u64 v[2:3], v[12:13], 0, v[2:3]
	v_mad_u64_u32 v[14:15], s[2:3], v1, s41, 0
	v_add_co_u32_e32 v2, vcc, v2, v14
	v_mad_u64_u32 v[12:13], s[2:3], v1, s20, 0
	s_nop 0
	v_addc_co_u32_e32 v2, vcc, v3, v15, vcc
	v_mov_b32_e32 v3, v10
	s_nop 0
	v_addc_co_u32_e32 v13, vcc, 0, v13, vcc
	v_lshl_add_u64 v[2:3], v[2:3], 0, v[12:13]
	v_mul_lo_u32 v7, s43, v2
	v_mul_lo_u32 v12, s42, v3
	v_mad_u64_u32 v[10:11], s[2:3], s42, v2, 0
	v_add3_u32 v7, v11, v12, v7
	v_sub_u32_e32 v11, v1, v7
	v_mov_b32_e32 v12, s43
	v_sub_co_u32_e32 v5, vcc, v5, v10
	s_nop 1
	v_subb_co_u32_e64 v10, s[2:3], v11, v12, vcc
	v_subrev_co_u32_e64 v11, s[2:3], s42, v5
	v_subb_co_u32_e32 v1, vcc, v1, v7, vcc
	s_nop 0
	v_subbrev_co_u32_e64 v10, s[2:3], 0, v10, s[2:3]
	v_cmp_le_u32_e64 s[2:3], s43, v10
	v_cmp_le_u32_e32 vcc, s43, v1
	s_nop 0
	v_cndmask_b32_e64 v12, 0, -1, s[2:3]
	v_cmp_le_u32_e64 s[2:3], s42, v11
	v_cndmask_b32_e64 v7, 0, -1, vcc
	v_cmp_le_u32_e32 vcc, s42, v5
	v_cndmask_b32_e64 v11, 0, -1, s[2:3]
	v_cmp_eq_u32_e64 s[2:3], s43, v10
	v_cndmask_b32_e64 v5, 0, -1, vcc
	v_cmp_eq_u32_e32 vcc, s43, v1
	v_cndmask_b32_e64 v14, v12, v11, s[2:3]
	v_lshl_add_u64 v[10:11], v[2:3], 0, 2
	v_lshl_add_u64 v[12:13], v[2:3], 0, 1
	v_cmp_ne_u32_e64 s[2:3], 0, v14
	v_cndmask_b32_e32 v1, v7, v5, vcc
	v_cmp_ne_u32_e32 vcc, 0, v1
	v_cndmask_b32_e64 v11, v13, v11, s[2:3]
	s_nop 0
	v_cndmask_b32_e32 v1, v3, v11, vcc
	v_cndmask_b32_e64 v3, v12, v10, s[2:3]
	v_cndmask_b32_e32 v2, v2, v3, vcc
	v_xor_b32_e32 v3, s40, v0
	v_xor_b32_e32 v0, v2, v3
	;; [unrolled: 1-line block ×3, first 2 shown]
	v_sub_co_u32_e32 v0, vcc, v0, v3
                                        ; implicit-def: $vgpr2
	s_nop 1
	v_subb_co_u32_e32 v1, vcc, v1, v3, vcc
.LBB7_20:
	s_andn2_saveexec_b64 s[2:3], s[38:39]
	s_cbranch_execz .LBB7_22
; %bb.21:
	v_cvt_f32_u32_e32 v0, s12
	s_sub_i32 s20, 0, s12
	v_rcp_iflag_f32_e32 v0, v0
	s_nop 0
	v_mul_f32_e32 v0, 0x4f7ffffe, v0
	v_cvt_u32_f32_e32 v0, v0
	v_mul_lo_u32 v1, s20, v0
	v_mul_hi_u32 v1, v0, v1
	v_add_u32_e32 v0, v0, v1
	v_mul_hi_u32 v0, v2, v0
	v_mul_lo_u32 v1, v0, s12
	v_sub_u32_e32 v1, v2, v1
	v_add_u32_e32 v3, 1, v0
	v_subrev_u32_e32 v2, s12, v1
	v_cmp_le_u32_e32 vcc, s12, v1
	s_nop 1
	v_cndmask_b32_e32 v1, v1, v2, vcc
	v_cndmask_b32_e32 v0, v0, v3, vcc
	v_add_u32_e32 v2, 1, v0
	v_cmp_le_u32_e32 vcc, s12, v1
	v_mov_b32_e32 v1, 0
	s_nop 0
	v_cndmask_b32_e32 v0, v0, v2, vcc
.LBB7_22:
	s_or_b64 exec, exec, s[2:3]
.LBB7_23:
	s_or_b64 exec, exec, s[36:37]
	v_or_b32_e32 v3, s13, v9
	v_mov_b32_e32 v2, 0
	v_cmp_ne_u64_e32 vcc, 0, v[2:3]
                                        ; implicit-def: $vgpr10_vgpr11
	s_and_saveexec_b64 s[2:3], vcc
	s_xor_b64 s[36:37], exec, s[2:3]
	s_cbranch_execz .LBB7_25
; %bb.24:
	s_ashr_i32 s38, s13, 31
	s_add_u32 s2, s12, s38
	s_mov_b32 s39, s38
	s_addc_u32 s3, s13, s38
	s_xor_b64 s[40:41], s[2:3], s[38:39]
	v_cvt_f32_u32_e32 v3, s40
	v_cvt_f32_u32_e32 v5, s41
	s_sub_u32 s20, 0, s40
	s_subb_u32 s39, 0, s41
	v_ashrrev_i32_e32 v10, 31, v9
	v_fmamk_f32 v3, v5, 0x4f800000, v3
	v_rcp_f32_e32 v3, v3
	v_mov_b32_e32 v11, v10
	v_lshl_add_u64 v[12:13], v[8:9], 0, v[10:11]
	v_xor_b32_e32 v7, v12, v10
	v_mul_f32_e32 v3, 0x5f7ffffc, v3
	v_mul_f32_e32 v5, 0x2f800000, v3
	v_trunc_f32_e32 v5, v5
	v_fmamk_f32 v3, v5, 0xcf800000, v3
	v_cvt_u32_f32_e32 v5, v5
	v_cvt_u32_f32_e32 v3, v3
	v_mov_b32_e32 v15, v2
	v_readfirstlane_b32 s42, v5
	v_readfirstlane_b32 s2, v3
	s_mul_i32 s3, s20, s42
	s_mul_hi_u32 s44, s20, s2
	s_mul_i32 s43, s39, s2
	s_add_i32 s3, s44, s3
	s_add_i32 s3, s3, s43
	s_mul_i32 s45, s20, s2
	s_mul_i32 s44, s2, s3
	s_mul_hi_u32 s46, s2, s45
	s_mul_hi_u32 s43, s2, s3
	s_add_u32 s44, s46, s44
	s_addc_u32 s43, 0, s43
	s_mul_hi_u32 s47, s42, s45
	s_mul_i32 s45, s42, s45
	s_add_u32 s44, s44, s45
	s_mul_hi_u32 s46, s42, s3
	s_addc_u32 s43, s43, s47
	s_addc_u32 s44, s46, 0
	s_mul_i32 s3, s42, s3
	s_add_u32 s3, s43, s3
	s_addc_u32 s43, 0, s44
	s_add_u32 s44, s2, s3
	s_cselect_b64 s[2:3], -1, 0
	s_cmp_lg_u64 s[2:3], 0
	s_addc_u32 s42, s42, s43
	s_mul_i32 s2, s20, s42
	s_mul_hi_u32 s3, s20, s44
	s_add_i32 s2, s3, s2
	s_mul_i32 s39, s39, s44
	s_add_i32 s2, s2, s39
	s_mul_i32 s20, s20, s44
	s_mul_hi_u32 s39, s42, s20
	s_mul_i32 s43, s42, s20
	s_mul_i32 s46, s44, s2
	s_mul_hi_u32 s20, s44, s20
	s_mul_hi_u32 s45, s44, s2
	s_add_u32 s20, s20, s46
	s_addc_u32 s45, 0, s45
	s_add_u32 s20, s20, s43
	s_mul_hi_u32 s3, s42, s2
	s_addc_u32 s20, s45, s39
	s_addc_u32 s3, s3, 0
	s_mul_i32 s2, s42, s2
	s_add_u32 s2, s20, s2
	s_addc_u32 s20, 0, s3
	s_add_u32 s39, s44, s2
	s_cselect_b64 s[2:3], -1, 0
	s_cmp_lg_u64 s[2:3], 0
	s_addc_u32 s20, s42, s20
	v_xor_b32_e32 v5, v13, v10
	v_mad_u64_u32 v[12:13], s[2:3], v7, s20, 0
	v_mul_hi_u32 v14, v7, s39
	v_lshl_add_u64 v[12:13], v[14:15], 0, v[12:13]
	v_mad_u64_u32 v[18:19], s[2:3], v5, s39, 0
	v_add_co_u32_e32 v3, vcc, v12, v18
	v_mad_u64_u32 v[14:15], s[2:3], v5, s20, 0
	s_nop 0
	v_addc_co_u32_e32 v12, vcc, v13, v19, vcc
	v_mov_b32_e32 v13, v2
	s_nop 0
	v_addc_co_u32_e32 v15, vcc, 0, v15, vcc
	v_lshl_add_u64 v[2:3], v[12:13], 0, v[14:15]
	v_mul_lo_u32 v11, s41, v2
	v_mul_lo_u32 v14, s40, v3
	v_mad_u64_u32 v[12:13], s[2:3], s40, v2, 0
	v_add3_u32 v11, v13, v14, v11
	v_sub_u32_e32 v13, v5, v11
	v_mov_b32_e32 v14, s41
	v_sub_co_u32_e32 v7, vcc, v7, v12
	s_nop 1
	v_subb_co_u32_e64 v12, s[2:3], v13, v14, vcc
	v_subrev_co_u32_e64 v13, s[2:3], s40, v7
	v_subb_co_u32_e32 v5, vcc, v5, v11, vcc
	s_nop 0
	v_subbrev_co_u32_e64 v12, s[2:3], 0, v12, s[2:3]
	v_cmp_le_u32_e64 s[2:3], s41, v12
	v_cmp_le_u32_e32 vcc, s41, v5
	s_nop 0
	v_cndmask_b32_e64 v14, 0, -1, s[2:3]
	v_cmp_le_u32_e64 s[2:3], s40, v13
	v_cndmask_b32_e64 v11, 0, -1, vcc
	v_cmp_le_u32_e32 vcc, s40, v7
	v_cndmask_b32_e64 v13, 0, -1, s[2:3]
	v_cmp_eq_u32_e64 s[2:3], s41, v12
	v_cndmask_b32_e64 v7, 0, -1, vcc
	v_cmp_eq_u32_e32 vcc, s41, v5
	v_cndmask_b32_e64 v17, v14, v13, s[2:3]
	v_lshl_add_u64 v[12:13], v[2:3], 0, 2
	v_lshl_add_u64 v[14:15], v[2:3], 0, 1
	v_cmp_ne_u32_e64 s[2:3], 0, v17
	v_cndmask_b32_e32 v5, v11, v7, vcc
	v_cmp_ne_u32_e32 vcc, 0, v5
	v_cndmask_b32_e64 v5, v14, v12, s[2:3]
	v_cndmask_b32_e64 v13, v15, v13, s[2:3]
	v_cndmask_b32_e32 v2, v2, v5, vcc
	v_xor_b32_e32 v5, s38, v10
	v_cndmask_b32_e32 v3, v3, v13, vcc
	v_xor_b32_e32 v2, v2, v5
	v_xor_b32_e32 v3, v3, v5
	v_sub_co_u32_e32 v10, vcc, v2, v5
	s_nop 1
	v_subb_co_u32_e32 v11, vcc, v3, v5, vcc
.LBB7_25:
	s_andn2_saveexec_b64 s[2:3], s[36:37]
	s_cbranch_execz .LBB7_27
; %bb.26:
	v_cvt_f32_u32_e32 v2, s12
	s_sub_i32 s20, 0, s12
	v_mov_b32_e32 v11, 0
	v_rcp_iflag_f32_e32 v2, v2
	s_nop 0
	v_mul_f32_e32 v2, 0x4f7ffffe, v2
	v_cvt_u32_f32_e32 v2, v2
	v_mul_lo_u32 v3, s20, v2
	v_mul_hi_u32 v3, v2, v3
	v_add_u32_e32 v2, v2, v3
	v_mul_hi_u32 v2, v8, v2
	v_mul_lo_u32 v3, v2, s12
	v_sub_u32_e32 v3, v8, v3
	v_add_u32_e32 v5, 1, v2
	v_subrev_u32_e32 v7, s12, v3
	v_cmp_le_u32_e32 vcc, s12, v3
	s_nop 1
	v_cndmask_b32_e32 v3, v3, v7, vcc
	v_cndmask_b32_e32 v2, v2, v5, vcc
	v_add_u32_e32 v5, 1, v2
	v_cmp_le_u32_e32 vcc, s12, v3
	s_nop 1
	v_cndmask_b32_e32 v10, v2, v5, vcc
.LBB7_27:
	s_or_b64 exec, exec, s[2:3]
	v_mul_lo_u32 v5, v1, s12
	v_mul_lo_u32 v7, v0, s13
	v_mad_u64_u32 v[2:3], s[2:3], v0, s12, 0
	v_add3_u32 v3, v3, v7, v5
	v_cmp_gt_i64_e32 vcc, v[2:3], v[8:9]
	v_mov_b64_e32 v[2:3], s[10:11]
	v_mad_u64_u32 v[2:3], s[2:3], v0, s12, v[2:3]
	v_add3_u32 v3, v5, v3, v7
	v_cmp_ge_i64_e64 s[2:3], v[8:9], v[2:3]
	s_or_b64 s[2:3], vcc, s[2:3]
	v_cmp_gt_i64_e32 vcc, s[14:15], v[10:11]
	v_cndmask_b32_e64 v2, 0, 1, s[2:3]
	s_mov_b32 s2, 0
	v_mov_b32_e32 v3, s2
	v_lshl_add_u64 v[14:15], v[0:1], 0, v[2:3]
	v_mov_b32_e32 v0, s15
	v_cndmask_b32_e32 v11, v0, v11, vcc
	v_mov_b32_e32 v0, s14
	v_cndmask_b32_e32 v10, v0, v10, vcc
	v_cmp_le_i64_e32 vcc, v[14:15], v[10:11]
	s_and_saveexec_b64 s[2:3], vcc
	s_cbranch_execz .LBB7_30
; %bb.28:
	global_load_dwordx4 v[0:3], v6, s[4:5]
	v_mul_lo_u32 v17, s13, v14
	v_mul_lo_u32 v20, s12, v15
	v_mad_u64_u32 v[18:19], s[36:37], s12, v14, 0
	v_add3_u32 v17, v19, v20, v17
	v_sub_co_u32_e32 v8, vcc, v8, v18
	v_mov_b32_e32 v7, 0
	s_nop 0
	v_subb_co_u32_e32 v9, vcc, v9, v17, vcc
	v_mul_lo_u32 v17, s19, v8
	v_mul_lo_u32 v18, s18, v9
	v_mad_u64_u32 v[8:9], s[36:37], s18, v8, 0
	v_lshl_add_u64 v[12:13], s[4:5], 0, v[6:7]
	v_mov_b32_e32 v5, v7
	v_lshl_add_u64 v[6:7], v[14:15], 0, -1
	v_add3_u32 v9, v9, v18, v17
	v_mul_lo_u32 v17, s17, v14
	v_mul_lo_u32 v18, s16, v15
	v_mad_u64_u32 v[14:15], s[36:37], s16, v14, 0
	v_add3_u32 v15, v15, v18, v17
	s_mul_i32 s20, s12, s19
	s_mul_hi_u32 s38, s12, s18
	v_lshlrev_b64 v[14:15], 4, v[14:15]
	s_add_i32 s20, s38, s20
	s_mul_i32 s38, s13, s18
	v_lshl_add_u64 v[8:9], v[8:9], 4, v[14:15]
	s_add_i32 s39, s20, s38
	s_mul_i32 s38, s12, s18
	v_lshl_add_u64 v[4:5], v[8:9], 0, v[4:5]
	s_lshl_b64 s[36:37], s[16:17], 4
	s_lshl_b64 s[38:39], s[38:39], 4
	v_lshl_add_u64 v[4:5], s[6:7], 0, v[4:5]
	s_sub_u32 s36, s36, s38
	v_lshl_add_u64 v[4:5], v[4:5], 0, 8
	s_subb_u32 s37, s37, s39
	s_mov_b64 s[38:39], 0
.LBB7_29:                               ; =>This Inner Loop Header: Depth=1
	global_load_dwordx4 v[18:21], v[4:5], off offset:-8
	v_lshl_add_u64 v[6:7], v[6:7], 0, 1
	v_cmp_ge_i64_e32 vcc, v[6:7], v[10:11]
	v_lshl_add_u64 v[4:5], v[4:5], 0, s[36:37]
	s_or_b64 s[38:39], vcc, s[38:39]
	s_waitcnt vmcnt(0)
	v_add_f64 v[0:1], v[0:1], v[18:19]
	v_add_f64 v[2:3], v[2:3], v[20:21]
	global_store_dwordx4 v[12:13], v[0:3], off
	s_andn2_b64 exec, exec, s[38:39]
	s_cbranch_execnz .LBB7_29
.LBB7_30:
	s_or_b64 exec, exec, s[2:3]
	v_add_u32_e32 v16, 0x100, v16
	s_or_b64 exec, exec, s[66:67]
	v_cmp_gt_i32_e32 vcc, s70, v16
	s_and_saveexec_b64 s[66:67], vcc
	s_cbranch_execz .LBB7_2
.LBB7_31:
	s_and_b64 vcc, exec, s[0:1]
	s_cbranch_vccnz .LBB7_37
; %bb.32:
	v_mov_b32_e32 v0, 0
	s_andn2_b64 vcc, exec, s[64:65]
	v_mov_b32_e32 v4, 0
	v_mov_b32_e32 v6, 0
	s_cbranch_vccnz .LBB7_41
; %bb.33:
	s_add_i32 s71, s69, 1
	s_cmp_eq_u32 s68, 2
	s_cbranch_scc1 .LBB7_38
; %bb.34:
	s_and_b32 s20, s71, 28
	v_mov_b32_e32 v6, 0
	s_mov_b32 s72, 0
	s_mov_b64 s[2:3], s[62:63]
	v_mov_b32_e32 v2, v16
	v_mov_b32_e32 v4, 0
	v_mov_b32_e32 v0, 0
.LBB7_35:                               ; =>This Inner Loop Header: Depth=1
	s_load_dwordx8 s[36:43], s[2:3], 0x0
	s_load_dwordx4 s[52:55], s[2:3], 0x20
	s_load_dwordx4 s[56:59], s[2:3], 0xe0
	s_load_dwordx8 s[44:51], s[2:3], 0xc0
	s_add_i32 s72, s72, 4
	s_waitcnt lgkmcnt(0)
	v_mul_hi_u32 v1, s37, v2
	v_add_u32_e32 v1, v2, v1
	v_lshrrev_b32_e32 v1, s38, v1
	v_mul_lo_u32 v3, v1, s36
	v_mul_hi_u32 v5, s40, v1
	v_sub_u32_e32 v2, v2, v3
	v_add_u32_e32 v3, v1, v5
	v_lshrrev_b32_e32 v3, s41, v3
	v_mul_lo_u32 v8, v3, s39
	v_mul_hi_u32 v9, s43, v3
	v_sub_u32_e32 v1, v1, v8
	v_add_u32_e32 v8, v3, v9
	v_mul_lo_u32 v5, v2, s44
	v_mul_lo_u32 v7, v2, s46
	;; [unrolled: 1-line block ×6, first 2 shown]
	v_lshrrev_b32_e32 v8, s52, v8
	v_add3_u32 v1, v2, v4, v1
	v_mul_lo_u32 v2, v8, s42
	v_mul_hi_u32 v4, s54, v8
	v_sub_u32_e32 v2, v3, v2
	v_add_u32_e32 v3, v8, v4
	v_add3_u32 v5, v5, v6, v9
	v_add3_u32 v0, v7, v0, v10
	v_mul_lo_u32 v4, v2, s50
	v_mul_lo_u32 v7, v2, s51
	;; [unrolled: 1-line block ×3, first 2 shown]
	v_lshrrev_b32_e32 v2, s55, v3
	v_mul_lo_u32 v3, v2, s53
	s_add_u32 s2, s2, 48
	v_sub_u32_e32 v3, v8, v3
	s_addc_u32 s3, s3, 0
	v_mul_lo_u32 v6, v3, s57
	v_mul_lo_u32 v8, v3, s58
	;; [unrolled: 1-line block ×3, first 2 shown]
	s_cmp_eq_u32 s20, s72
	v_add3_u32 v6, v4, v5, v6
	v_add3_u32 v0, v9, v0, v3
	;; [unrolled: 1-line block ×3, first 2 shown]
	s_cbranch_scc0 .LBB7_35
; %bb.36:
	v_mov_b32_e32 v1, v0
	s_and_b32 s36, s71, 3
	s_cmp_eq_u32 s36, 0
	s_cbranch_scc0 .LBB7_39
	s_branch .LBB7_41
.LBB7_37:
                                        ; implicit-def: $vgpr0
                                        ; implicit-def: $vgpr4
                                        ; implicit-def: $vgpr6
	s_branch .LBB7_42
.LBB7_38:
	v_mov_b32_e32 v4, 0
	s_mov_b32 s20, 0
	v_mov_b32_e32 v1, v4
                                        ; implicit-def: $vgpr0
	v_mov_b32_e32 v2, v16
	v_mov_b32_e32 v6, v4
	s_and_b32 s36, s71, 3
	s_cmp_eq_u32 s36, 0
	s_cbranch_scc1 .LBB7_41
.LBB7_39:
	s_mul_i32 s2, s20, 12
	s_add_u32 s2, s27, s2
	s_addc_u32 s3, s33, 0
	s_add_u32 s2, s2, 4
	s_addc_u32 s3, s3, 0
.LBB7_40:                               ; =>This Inner Loop Header: Depth=1
	s_load_dwordx2 s[38:39], s[2:3], 0x0
	s_load_dword s20, s[2:3], 0x8
	s_load_dwordx2 s[40:41], s[2:3], 0xc0
	s_load_dword s37, s[2:3], 0xc8
	v_mov_b32_e32 v0, v1
	s_waitcnt lgkmcnt(0)
	v_mul_hi_u32 v1, s39, v2
	v_add_u32_e32 v1, v2, v1
	v_lshrrev_b32_e32 v1, s20, v1
	v_mul_lo_u32 v3, v1, s38
	s_add_u32 s2, s2, 12
	v_sub_u32_e32 v3, v2, v3
	s_addc_u32 s3, s3, 0
	s_add_i32 s36, s36, -1
	v_mov_b32_e32 v2, v1
	v_mad_u64_u32 v[0:1], s[38:39], v3, s37, v[0:1]
	s_cmp_lg_u32 s36, 0
	v_mad_u64_u32 v[6:7], s[38:39], v3, s40, v[6:7]
	v_mad_u64_u32 v[4:5], s[38:39], v3, s41, v[4:5]
	v_mov_b32_e32 v1, v0
	s_cbranch_scc1 .LBB7_40
.LBB7_41:
	s_cbranch_execnz .LBB7_44
.LBB7_42:
	v_mul_hi_u32 v0, s22, v16
	v_add_u32_e32 v0, v16, v0
	v_lshrrev_b32_e32 v1, s23, v0
	v_mul_lo_u32 v0, v1, s21
	v_sub_u32_e32 v2, v16, v0
	v_mul_lo_u32 v6, v2, s28
	v_mul_lo_u32 v0, v2, s30
	s_andn2_b64 vcc, exec, s[60:61]
	v_mul_lo_u32 v4, v2, s29
	s_cbranch_vccnz .LBB7_44
; %bb.43:
	v_mul_hi_u32 v2, s25, v1
	v_add_u32_e32 v2, v1, v2
	v_lshrrev_b32_e32 v2, s26, v2
	v_mul_lo_u32 v2, v2, s24
	v_sub_u32_e32 v1, v1, v2
	v_mad_u64_u32 v[6:7], s[2:3], v1, s31, v[6:7]
	v_mad_u64_u32 v[4:5], s[2:3], v1, s34, v[4:5]
	;; [unrolled: 1-line block ×3, first 2 shown]
.LBB7_44:
	global_load_dwordx2 v[8:9], v0, s[8:9]
	v_mov_b64_e32 v[0:1], 0
	s_waitcnt vmcnt(0)
	v_cmp_lt_i64_e32 vcc, s[10:11], v[8:9]
	s_and_saveexec_b64 s[36:37], vcc
	s_cbranch_execz .LBB7_50
; %bb.45:
	v_mov_b32_e32 v0, s11
	v_subrev_co_u32_e32 v2, vcc, s10, v8
	v_mov_b32_e32 v10, 0
	s_nop 0
	v_subb_co_u32_e32 v3, vcc, v9, v0, vcc
	v_or_b32_e32 v11, s13, v3
	v_cmp_ne_u64_e32 vcc, 0, v[10:11]
                                        ; implicit-def: $vgpr0_vgpr1
	s_and_saveexec_b64 s[2:3], vcc
	s_xor_b64 s[38:39], exec, s[2:3]
	s_cbranch_execz .LBB7_47
; %bb.46:
	s_ashr_i32 s40, s13, 31
	s_add_u32 s2, s12, s40
	s_mov_b32 s41, s40
	s_addc_u32 s3, s13, s40
	s_xor_b64 s[42:43], s[2:3], s[40:41]
	v_cvt_f32_u32_e32 v0, s42
	v_cvt_f32_u32_e32 v1, s43
	s_sub_u32 s20, 0, s42
	s_subb_u32 s41, 0, s43
	v_mov_b32_e32 v13, v10
	v_fmamk_f32 v0, v1, 0x4f800000, v0
	v_rcp_f32_e32 v0, v0
	s_nop 0
	v_mul_f32_e32 v0, 0x5f7ffffc, v0
	v_mul_f32_e32 v1, 0x2f800000, v0
	v_trunc_f32_e32 v1, v1
	v_fmamk_f32 v0, v1, 0xcf800000, v0
	v_cvt_u32_f32_e32 v1, v1
	v_cvt_u32_f32_e32 v0, v0
	v_readfirstlane_b32 s44, v1
	v_readfirstlane_b32 s2, v0
	s_mul_i32 s3, s20, s44
	s_mul_hi_u32 s46, s20, s2
	s_mul_i32 s45, s41, s2
	s_add_i32 s3, s46, s3
	s_add_i32 s3, s3, s45
	s_mul_i32 s47, s20, s2
	s_mul_i32 s46, s2, s3
	s_mul_hi_u32 s48, s2, s47
	s_mul_hi_u32 s45, s2, s3
	s_add_u32 s46, s48, s46
	s_addc_u32 s45, 0, s45
	s_mul_hi_u32 s49, s44, s47
	s_mul_i32 s47, s44, s47
	s_add_u32 s46, s46, s47
	s_mul_hi_u32 s48, s44, s3
	s_addc_u32 s45, s45, s49
	s_addc_u32 s46, s48, 0
	s_mul_i32 s3, s44, s3
	s_add_u32 s3, s45, s3
	s_addc_u32 s45, 0, s46
	s_add_u32 s46, s2, s3
	s_cselect_b64 s[2:3], -1, 0
	s_cmp_lg_u64 s[2:3], 0
	s_addc_u32 s44, s44, s45
	s_mul_i32 s2, s20, s44
	s_mul_hi_u32 s3, s20, s46
	s_add_i32 s2, s3, s2
	s_mul_i32 s41, s41, s46
	s_add_i32 s2, s2, s41
	s_mul_i32 s20, s20, s46
	s_mul_hi_u32 s41, s44, s20
	s_mul_i32 s45, s44, s20
	s_mul_i32 s48, s46, s2
	s_mul_hi_u32 s20, s46, s20
	s_mul_hi_u32 s47, s46, s2
	s_add_u32 s20, s20, s48
	s_addc_u32 s47, 0, s47
	s_add_u32 s20, s20, s45
	s_mul_hi_u32 s3, s44, s2
	s_addc_u32 s20, s47, s41
	s_addc_u32 s3, s3, 0
	s_mul_i32 s2, s44, s2
	s_add_u32 s2, s20, s2
	s_addc_u32 s20, 0, s3
	s_add_u32 s41, s46, s2
	v_ashrrev_i32_e32 v0, 31, v3
	s_cselect_b64 s[2:3], -1, 0
	v_mov_b32_e32 v1, v0
	s_cmp_lg_u64 s[2:3], 0
	v_lshl_add_u64 v[2:3], v[2:3], 0, v[0:1]
	s_addc_u32 s20, s44, s20
	v_xor_b32_e32 v5, v2, v0
	v_xor_b32_e32 v1, v3, v0
	v_mad_u64_u32 v[2:3], s[2:3], v5, s20, 0
	v_mul_hi_u32 v12, v5, s41
	v_lshl_add_u64 v[2:3], v[12:13], 0, v[2:3]
	v_mad_u64_u32 v[14:15], s[2:3], v1, s41, 0
	v_add_co_u32_e32 v2, vcc, v2, v14
	v_mad_u64_u32 v[12:13], s[2:3], v1, s20, 0
	s_nop 0
	v_addc_co_u32_e32 v2, vcc, v3, v15, vcc
	v_mov_b32_e32 v3, v10
	s_nop 0
	v_addc_co_u32_e32 v13, vcc, 0, v13, vcc
	v_lshl_add_u64 v[2:3], v[2:3], 0, v[12:13]
	v_mul_lo_u32 v7, s43, v2
	v_mul_lo_u32 v12, s42, v3
	v_mad_u64_u32 v[10:11], s[2:3], s42, v2, 0
	v_add3_u32 v7, v11, v12, v7
	v_sub_u32_e32 v11, v1, v7
	v_mov_b32_e32 v12, s43
	v_sub_co_u32_e32 v5, vcc, v5, v10
	s_nop 1
	v_subb_co_u32_e64 v10, s[2:3], v11, v12, vcc
	v_subrev_co_u32_e64 v11, s[2:3], s42, v5
	v_subb_co_u32_e32 v1, vcc, v1, v7, vcc
	s_nop 0
	v_subbrev_co_u32_e64 v10, s[2:3], 0, v10, s[2:3]
	v_cmp_le_u32_e64 s[2:3], s43, v10
	v_cmp_le_u32_e32 vcc, s43, v1
	s_nop 0
	v_cndmask_b32_e64 v12, 0, -1, s[2:3]
	v_cmp_le_u32_e64 s[2:3], s42, v11
	v_cndmask_b32_e64 v7, 0, -1, vcc
	v_cmp_le_u32_e32 vcc, s42, v5
	v_cndmask_b32_e64 v11, 0, -1, s[2:3]
	v_cmp_eq_u32_e64 s[2:3], s43, v10
	v_cndmask_b32_e64 v5, 0, -1, vcc
	v_cmp_eq_u32_e32 vcc, s43, v1
	v_cndmask_b32_e64 v14, v12, v11, s[2:3]
	v_lshl_add_u64 v[10:11], v[2:3], 0, 2
	v_lshl_add_u64 v[12:13], v[2:3], 0, 1
	v_cmp_ne_u32_e64 s[2:3], 0, v14
	v_cndmask_b32_e32 v1, v7, v5, vcc
	v_cmp_ne_u32_e32 vcc, 0, v1
	v_cndmask_b32_e64 v11, v13, v11, s[2:3]
	s_nop 0
	v_cndmask_b32_e32 v1, v3, v11, vcc
	v_cndmask_b32_e64 v3, v12, v10, s[2:3]
	v_cndmask_b32_e32 v2, v2, v3, vcc
	v_xor_b32_e32 v3, s40, v0
	v_xor_b32_e32 v0, v2, v3
	;; [unrolled: 1-line block ×3, first 2 shown]
	v_sub_co_u32_e32 v0, vcc, v0, v3
                                        ; implicit-def: $vgpr2
	s_nop 1
	v_subb_co_u32_e32 v1, vcc, v1, v3, vcc
.LBB7_47:
	s_andn2_saveexec_b64 s[2:3], s[38:39]
	s_cbranch_execz .LBB7_49
; %bb.48:
	v_cvt_f32_u32_e32 v0, s12
	s_sub_i32 s20, 0, s12
	v_rcp_iflag_f32_e32 v0, v0
	s_nop 0
	v_mul_f32_e32 v0, 0x4f7ffffe, v0
	v_cvt_u32_f32_e32 v0, v0
	v_mul_lo_u32 v1, s20, v0
	v_mul_hi_u32 v1, v0, v1
	v_add_u32_e32 v0, v0, v1
	v_mul_hi_u32 v0, v2, v0
	v_mul_lo_u32 v1, v0, s12
	v_sub_u32_e32 v1, v2, v1
	v_add_u32_e32 v3, 1, v0
	v_subrev_u32_e32 v2, s12, v1
	v_cmp_le_u32_e32 vcc, s12, v1
	s_nop 1
	v_cndmask_b32_e32 v1, v1, v2, vcc
	v_cndmask_b32_e32 v0, v0, v3, vcc
	v_add_u32_e32 v2, 1, v0
	v_cmp_le_u32_e32 vcc, s12, v1
	v_mov_b32_e32 v1, 0
	s_nop 0
	v_cndmask_b32_e32 v0, v0, v2, vcc
.LBB7_49:
	s_or_b64 exec, exec, s[2:3]
.LBB7_50:
	s_or_b64 exec, exec, s[36:37]
	v_or_b32_e32 v3, s13, v9
	v_mov_b32_e32 v2, 0
	v_cmp_ne_u64_e32 vcc, 0, v[2:3]
                                        ; implicit-def: $vgpr10_vgpr11
	s_and_saveexec_b64 s[2:3], vcc
	s_xor_b64 s[36:37], exec, s[2:3]
	s_cbranch_execz .LBB7_52
; %bb.51:
	s_ashr_i32 s38, s13, 31
	s_add_u32 s2, s12, s38
	s_mov_b32 s39, s38
	s_addc_u32 s3, s13, s38
	s_xor_b64 s[40:41], s[2:3], s[38:39]
	v_cvt_f32_u32_e32 v3, s40
	v_cvt_f32_u32_e32 v5, s41
	s_sub_u32 s20, 0, s40
	s_subb_u32 s39, 0, s41
	v_ashrrev_i32_e32 v10, 31, v9
	v_fmamk_f32 v3, v5, 0x4f800000, v3
	v_rcp_f32_e32 v3, v3
	v_mov_b32_e32 v11, v10
	v_lshl_add_u64 v[12:13], v[8:9], 0, v[10:11]
	v_xor_b32_e32 v7, v12, v10
	v_mul_f32_e32 v3, 0x5f7ffffc, v3
	v_mul_f32_e32 v5, 0x2f800000, v3
	v_trunc_f32_e32 v5, v5
	v_fmamk_f32 v3, v5, 0xcf800000, v3
	v_cvt_u32_f32_e32 v5, v5
	v_cvt_u32_f32_e32 v3, v3
	v_mov_b32_e32 v15, v2
	v_readfirstlane_b32 s42, v5
	v_readfirstlane_b32 s2, v3
	s_mul_i32 s3, s20, s42
	s_mul_hi_u32 s44, s20, s2
	s_mul_i32 s43, s39, s2
	s_add_i32 s3, s44, s3
	s_add_i32 s3, s3, s43
	s_mul_i32 s45, s20, s2
	s_mul_i32 s44, s2, s3
	s_mul_hi_u32 s46, s2, s45
	s_mul_hi_u32 s43, s2, s3
	s_add_u32 s44, s46, s44
	s_addc_u32 s43, 0, s43
	s_mul_hi_u32 s47, s42, s45
	s_mul_i32 s45, s42, s45
	s_add_u32 s44, s44, s45
	s_mul_hi_u32 s46, s42, s3
	s_addc_u32 s43, s43, s47
	s_addc_u32 s44, s46, 0
	s_mul_i32 s3, s42, s3
	s_add_u32 s3, s43, s3
	s_addc_u32 s43, 0, s44
	s_add_u32 s44, s2, s3
	s_cselect_b64 s[2:3], -1, 0
	s_cmp_lg_u64 s[2:3], 0
	s_addc_u32 s42, s42, s43
	s_mul_i32 s2, s20, s42
	s_mul_hi_u32 s3, s20, s44
	s_add_i32 s2, s3, s2
	s_mul_i32 s39, s39, s44
	s_add_i32 s2, s2, s39
	s_mul_i32 s20, s20, s44
	s_mul_hi_u32 s39, s42, s20
	s_mul_i32 s43, s42, s20
	s_mul_i32 s46, s44, s2
	s_mul_hi_u32 s20, s44, s20
	s_mul_hi_u32 s45, s44, s2
	s_add_u32 s20, s20, s46
	s_addc_u32 s45, 0, s45
	s_add_u32 s20, s20, s43
	s_mul_hi_u32 s3, s42, s2
	s_addc_u32 s20, s45, s39
	s_addc_u32 s3, s3, 0
	s_mul_i32 s2, s42, s2
	s_add_u32 s2, s20, s2
	s_addc_u32 s20, 0, s3
	s_add_u32 s39, s44, s2
	s_cselect_b64 s[2:3], -1, 0
	s_cmp_lg_u64 s[2:3], 0
	s_addc_u32 s20, s42, s20
	v_xor_b32_e32 v5, v13, v10
	v_mad_u64_u32 v[12:13], s[2:3], v7, s20, 0
	v_mul_hi_u32 v14, v7, s39
	v_lshl_add_u64 v[12:13], v[14:15], 0, v[12:13]
	v_mad_u64_u32 v[18:19], s[2:3], v5, s39, 0
	v_add_co_u32_e32 v3, vcc, v12, v18
	v_mad_u64_u32 v[14:15], s[2:3], v5, s20, 0
	s_nop 0
	v_addc_co_u32_e32 v12, vcc, v13, v19, vcc
	v_mov_b32_e32 v13, v2
	s_nop 0
	v_addc_co_u32_e32 v15, vcc, 0, v15, vcc
	v_lshl_add_u64 v[2:3], v[12:13], 0, v[14:15]
	v_mul_lo_u32 v11, s41, v2
	v_mul_lo_u32 v14, s40, v3
	v_mad_u64_u32 v[12:13], s[2:3], s40, v2, 0
	v_add3_u32 v11, v13, v14, v11
	v_sub_u32_e32 v13, v5, v11
	v_mov_b32_e32 v14, s41
	v_sub_co_u32_e32 v7, vcc, v7, v12
	s_nop 1
	v_subb_co_u32_e64 v12, s[2:3], v13, v14, vcc
	v_subrev_co_u32_e64 v13, s[2:3], s40, v7
	v_subb_co_u32_e32 v5, vcc, v5, v11, vcc
	s_nop 0
	v_subbrev_co_u32_e64 v12, s[2:3], 0, v12, s[2:3]
	v_cmp_le_u32_e64 s[2:3], s41, v12
	v_cmp_le_u32_e32 vcc, s41, v5
	s_nop 0
	v_cndmask_b32_e64 v14, 0, -1, s[2:3]
	v_cmp_le_u32_e64 s[2:3], s40, v13
	v_cndmask_b32_e64 v11, 0, -1, vcc
	v_cmp_le_u32_e32 vcc, s40, v7
	v_cndmask_b32_e64 v13, 0, -1, s[2:3]
	v_cmp_eq_u32_e64 s[2:3], s41, v12
	v_cndmask_b32_e64 v7, 0, -1, vcc
	v_cmp_eq_u32_e32 vcc, s41, v5
	v_cndmask_b32_e64 v17, v14, v13, s[2:3]
	v_lshl_add_u64 v[12:13], v[2:3], 0, 2
	v_lshl_add_u64 v[14:15], v[2:3], 0, 1
	v_cmp_ne_u32_e64 s[2:3], 0, v17
	v_cndmask_b32_e32 v5, v11, v7, vcc
	v_cmp_ne_u32_e32 vcc, 0, v5
	v_cndmask_b32_e64 v5, v14, v12, s[2:3]
	v_cndmask_b32_e64 v13, v15, v13, s[2:3]
	v_cndmask_b32_e32 v2, v2, v5, vcc
	v_xor_b32_e32 v5, s38, v10
	v_cndmask_b32_e32 v3, v3, v13, vcc
	v_xor_b32_e32 v2, v2, v5
	v_xor_b32_e32 v3, v3, v5
	v_sub_co_u32_e32 v10, vcc, v2, v5
	s_nop 1
	v_subb_co_u32_e32 v11, vcc, v3, v5, vcc
.LBB7_52:
	s_andn2_saveexec_b64 s[2:3], s[36:37]
	s_cbranch_execz .LBB7_54
; %bb.53:
	v_cvt_f32_u32_e32 v2, s12
	s_sub_i32 s20, 0, s12
	v_mov_b32_e32 v11, 0
	v_rcp_iflag_f32_e32 v2, v2
	s_nop 0
	v_mul_f32_e32 v2, 0x4f7ffffe, v2
	v_cvt_u32_f32_e32 v2, v2
	v_mul_lo_u32 v3, s20, v2
	v_mul_hi_u32 v3, v2, v3
	v_add_u32_e32 v2, v2, v3
	v_mul_hi_u32 v2, v8, v2
	v_mul_lo_u32 v3, v2, s12
	v_sub_u32_e32 v3, v8, v3
	v_add_u32_e32 v5, 1, v2
	v_subrev_u32_e32 v7, s12, v3
	v_cmp_le_u32_e32 vcc, s12, v3
	s_nop 1
	v_cndmask_b32_e32 v3, v3, v7, vcc
	v_cndmask_b32_e32 v2, v2, v5, vcc
	v_add_u32_e32 v5, 1, v2
	v_cmp_le_u32_e32 vcc, s12, v3
	s_nop 1
	v_cndmask_b32_e32 v10, v2, v5, vcc
.LBB7_54:
	s_or_b64 exec, exec, s[2:3]
	v_mul_lo_u32 v5, v1, s12
	v_mul_lo_u32 v7, v0, s13
	v_mad_u64_u32 v[2:3], s[2:3], v0, s12, 0
	v_add3_u32 v3, v3, v7, v5
	v_cmp_gt_i64_e32 vcc, v[2:3], v[8:9]
	v_mov_b64_e32 v[2:3], s[10:11]
	v_mad_u64_u32 v[2:3], s[2:3], v0, s12, v[2:3]
	v_add3_u32 v3, v5, v3, v7
	v_cmp_ge_i64_e64 s[2:3], v[8:9], v[2:3]
	s_or_b64 s[2:3], vcc, s[2:3]
	v_cmp_gt_i64_e32 vcc, s[14:15], v[10:11]
	v_cndmask_b32_e64 v2, 0, 1, s[2:3]
	s_mov_b32 s2, 0
	v_mov_b32_e32 v3, s2
	v_lshl_add_u64 v[14:15], v[0:1], 0, v[2:3]
	v_mov_b32_e32 v0, s15
	v_cndmask_b32_e32 v11, v0, v11, vcc
	v_mov_b32_e32 v0, s14
	v_cndmask_b32_e32 v10, v0, v10, vcc
	v_cmp_le_i64_e32 vcc, v[14:15], v[10:11]
	s_and_saveexec_b64 s[2:3], vcc
	s_cbranch_execz .LBB7_57
; %bb.55:
	global_load_dwordx4 v[0:3], v6, s[4:5]
	v_mul_lo_u32 v17, s13, v14
	v_mul_lo_u32 v20, s12, v15
	v_mad_u64_u32 v[18:19], s[36:37], s12, v14, 0
	v_add3_u32 v17, v19, v20, v17
	v_sub_co_u32_e32 v8, vcc, v8, v18
	v_mov_b32_e32 v7, 0
	s_nop 0
	v_subb_co_u32_e32 v9, vcc, v9, v17, vcc
	v_mul_lo_u32 v17, s19, v8
	v_mul_lo_u32 v18, s18, v9
	v_mad_u64_u32 v[8:9], s[36:37], s18, v8, 0
	v_lshl_add_u64 v[12:13], s[4:5], 0, v[6:7]
	v_mov_b32_e32 v5, v7
	v_lshl_add_u64 v[6:7], v[14:15], 0, -1
	v_add3_u32 v9, v9, v18, v17
	v_mul_lo_u32 v17, s17, v14
	v_mul_lo_u32 v18, s16, v15
	v_mad_u64_u32 v[14:15], s[36:37], s16, v14, 0
	v_add3_u32 v15, v15, v18, v17
	s_mul_i32 s20, s12, s19
	s_mul_hi_u32 s38, s12, s18
	v_lshlrev_b64 v[14:15], 4, v[14:15]
	s_add_i32 s20, s38, s20
	s_mul_i32 s38, s13, s18
	v_lshl_add_u64 v[8:9], v[8:9], 4, v[14:15]
	s_add_i32 s39, s20, s38
	s_mul_i32 s38, s12, s18
	v_lshl_add_u64 v[4:5], v[8:9], 0, v[4:5]
	s_lshl_b64 s[36:37], s[16:17], 4
	s_lshl_b64 s[38:39], s[38:39], 4
	v_lshl_add_u64 v[4:5], s[6:7], 0, v[4:5]
	s_sub_u32 s36, s36, s38
	v_lshl_add_u64 v[4:5], v[4:5], 0, 8
	s_subb_u32 s37, s37, s39
	s_mov_b64 s[38:39], 0
.LBB7_56:                               ; =>This Inner Loop Header: Depth=1
	global_load_dwordx4 v[18:21], v[4:5], off offset:-8
	v_lshl_add_u64 v[6:7], v[6:7], 0, 1
	v_cmp_ge_i64_e32 vcc, v[6:7], v[10:11]
	v_lshl_add_u64 v[4:5], v[4:5], 0, s[36:37]
	s_or_b64 s[38:39], vcc, s[38:39]
	s_waitcnt vmcnt(0)
	v_add_f64 v[0:1], v[0:1], v[18:19]
	v_add_f64 v[2:3], v[2:3], v[20:21]
	global_store_dwordx4 v[12:13], v[0:3], off
	s_andn2_b64 exec, exec, s[38:39]
	s_cbranch_execnz .LBB7_56
.LBB7_57:
	s_or_b64 exec, exec, s[2:3]
	v_add_u32_e32 v16, 0x100, v16
	s_or_b64 exec, exec, s[66:67]
	v_cmp_gt_i32_e32 vcc, s70, v16
	s_and_saveexec_b64 s[66:67], vcc
	s_cbranch_execz .LBB7_3
.LBB7_58:
	s_and_b64 vcc, exec, s[0:1]
	s_cbranch_vccnz .LBB7_64
; %bb.59:
	v_mov_b32_e32 v0, 0
	s_andn2_b64 vcc, exec, s[64:65]
	v_mov_b32_e32 v4, 0
	v_mov_b32_e32 v6, 0
	s_cbranch_vccnz .LBB7_68
; %bb.60:
	s_add_i32 s71, s69, 1
	s_cmp_eq_u32 s68, 2
	s_cbranch_scc1 .LBB7_65
; %bb.61:
	s_and_b32 s20, s71, 28
	v_mov_b32_e32 v6, 0
	s_mov_b32 s72, 0
	s_mov_b64 s[2:3], s[62:63]
	v_mov_b32_e32 v2, v16
	v_mov_b32_e32 v4, 0
	;; [unrolled: 1-line block ×3, first 2 shown]
.LBB7_62:                               ; =>This Inner Loop Header: Depth=1
	s_load_dwordx8 s[36:43], s[2:3], 0x0
	s_load_dwordx4 s[52:55], s[2:3], 0x20
	s_load_dwordx4 s[56:59], s[2:3], 0xe0
	s_load_dwordx8 s[44:51], s[2:3], 0xc0
	s_add_i32 s72, s72, 4
	s_waitcnt lgkmcnt(0)
	v_mul_hi_u32 v1, s37, v2
	v_add_u32_e32 v1, v2, v1
	v_lshrrev_b32_e32 v1, s38, v1
	v_mul_lo_u32 v3, v1, s36
	v_mul_hi_u32 v5, s40, v1
	v_sub_u32_e32 v2, v2, v3
	v_add_u32_e32 v3, v1, v5
	v_lshrrev_b32_e32 v3, s41, v3
	v_mul_lo_u32 v8, v3, s39
	v_mul_hi_u32 v9, s43, v3
	v_sub_u32_e32 v1, v1, v8
	v_add_u32_e32 v8, v3, v9
	v_mul_lo_u32 v5, v2, s44
	v_mul_lo_u32 v7, v2, s46
	;; [unrolled: 1-line block ×6, first 2 shown]
	v_lshrrev_b32_e32 v8, s52, v8
	v_add3_u32 v1, v2, v4, v1
	v_mul_lo_u32 v2, v8, s42
	v_mul_hi_u32 v4, s54, v8
	v_sub_u32_e32 v2, v3, v2
	v_add_u32_e32 v3, v8, v4
	v_add3_u32 v5, v5, v6, v9
	v_add3_u32 v0, v7, v0, v10
	v_mul_lo_u32 v4, v2, s50
	v_mul_lo_u32 v7, v2, s51
	;; [unrolled: 1-line block ×3, first 2 shown]
	v_lshrrev_b32_e32 v2, s55, v3
	v_mul_lo_u32 v3, v2, s53
	s_add_u32 s2, s2, 48
	v_sub_u32_e32 v3, v8, v3
	s_addc_u32 s3, s3, 0
	v_mul_lo_u32 v6, v3, s57
	v_mul_lo_u32 v8, v3, s58
	;; [unrolled: 1-line block ×3, first 2 shown]
	s_cmp_eq_u32 s20, s72
	v_add3_u32 v6, v4, v5, v6
	v_add3_u32 v0, v9, v0, v3
	;; [unrolled: 1-line block ×3, first 2 shown]
	s_cbranch_scc0 .LBB7_62
; %bb.63:
	v_mov_b32_e32 v1, v0
	s_and_b32 s36, s71, 3
	s_cmp_eq_u32 s36, 0
	s_cbranch_scc0 .LBB7_66
	s_branch .LBB7_68
.LBB7_64:
                                        ; implicit-def: $vgpr0
                                        ; implicit-def: $vgpr4
                                        ; implicit-def: $vgpr6
	s_branch .LBB7_69
.LBB7_65:
	v_mov_b32_e32 v4, 0
	s_mov_b32 s20, 0
	v_mov_b32_e32 v1, v4
                                        ; implicit-def: $vgpr0
	v_mov_b32_e32 v2, v16
	v_mov_b32_e32 v6, v4
	s_and_b32 s36, s71, 3
	s_cmp_eq_u32 s36, 0
	s_cbranch_scc1 .LBB7_68
.LBB7_66:
	s_mul_i32 s2, s20, 12
	s_add_u32 s2, s27, s2
	s_addc_u32 s3, s33, 0
	s_add_u32 s2, s2, 4
	s_addc_u32 s3, s3, 0
.LBB7_67:                               ; =>This Inner Loop Header: Depth=1
	s_load_dwordx2 s[38:39], s[2:3], 0x0
	s_load_dword s20, s[2:3], 0x8
	s_load_dwordx2 s[40:41], s[2:3], 0xc0
	s_load_dword s37, s[2:3], 0xc8
	v_mov_b32_e32 v0, v1
	s_waitcnt lgkmcnt(0)
	v_mul_hi_u32 v1, s39, v2
	v_add_u32_e32 v1, v2, v1
	v_lshrrev_b32_e32 v1, s20, v1
	v_mul_lo_u32 v3, v1, s38
	s_add_u32 s2, s2, 12
	v_sub_u32_e32 v3, v2, v3
	s_addc_u32 s3, s3, 0
	s_add_i32 s36, s36, -1
	v_mov_b32_e32 v2, v1
	v_mad_u64_u32 v[0:1], s[38:39], v3, s37, v[0:1]
	s_cmp_lg_u32 s36, 0
	v_mad_u64_u32 v[6:7], s[38:39], v3, s40, v[6:7]
	v_mad_u64_u32 v[4:5], s[38:39], v3, s41, v[4:5]
	v_mov_b32_e32 v1, v0
	s_cbranch_scc1 .LBB7_67
.LBB7_68:
	s_cbranch_execnz .LBB7_71
.LBB7_69:
	v_mul_hi_u32 v0, s22, v16
	v_add_u32_e32 v0, v16, v0
	v_lshrrev_b32_e32 v1, s23, v0
	v_mul_lo_u32 v0, v1, s21
	v_sub_u32_e32 v2, v16, v0
	v_mul_lo_u32 v6, v2, s28
	v_mul_lo_u32 v0, v2, s30
	s_andn2_b64 vcc, exec, s[60:61]
	v_mul_lo_u32 v4, v2, s29
	s_cbranch_vccnz .LBB7_71
; %bb.70:
	v_mul_hi_u32 v2, s25, v1
	v_add_u32_e32 v2, v1, v2
	v_lshrrev_b32_e32 v2, s26, v2
	v_mul_lo_u32 v2, v2, s24
	v_sub_u32_e32 v1, v1, v2
	v_mad_u64_u32 v[6:7], s[2:3], v1, s31, v[6:7]
	v_mad_u64_u32 v[4:5], s[2:3], v1, s34, v[4:5]
	;; [unrolled: 1-line block ×3, first 2 shown]
.LBB7_71:
	global_load_dwordx2 v[8:9], v0, s[8:9]
	v_mov_b64_e32 v[0:1], 0
	s_waitcnt vmcnt(0)
	v_cmp_lt_i64_e32 vcc, s[10:11], v[8:9]
	s_and_saveexec_b64 s[36:37], vcc
	s_cbranch_execz .LBB7_77
; %bb.72:
	v_mov_b32_e32 v0, s11
	v_subrev_co_u32_e32 v2, vcc, s10, v8
	v_mov_b32_e32 v10, 0
	s_nop 0
	v_subb_co_u32_e32 v3, vcc, v9, v0, vcc
	v_or_b32_e32 v11, s13, v3
	v_cmp_ne_u64_e32 vcc, 0, v[10:11]
                                        ; implicit-def: $vgpr0_vgpr1
	s_and_saveexec_b64 s[2:3], vcc
	s_xor_b64 s[38:39], exec, s[2:3]
	s_cbranch_execz .LBB7_74
; %bb.73:
	s_ashr_i32 s40, s13, 31
	s_add_u32 s2, s12, s40
	s_mov_b32 s41, s40
	s_addc_u32 s3, s13, s40
	s_xor_b64 s[42:43], s[2:3], s[40:41]
	v_cvt_f32_u32_e32 v0, s42
	v_cvt_f32_u32_e32 v1, s43
	s_sub_u32 s20, 0, s42
	s_subb_u32 s41, 0, s43
	v_mov_b32_e32 v13, v10
	v_fmamk_f32 v0, v1, 0x4f800000, v0
	v_rcp_f32_e32 v0, v0
	s_nop 0
	v_mul_f32_e32 v0, 0x5f7ffffc, v0
	v_mul_f32_e32 v1, 0x2f800000, v0
	v_trunc_f32_e32 v1, v1
	v_fmamk_f32 v0, v1, 0xcf800000, v0
	v_cvt_u32_f32_e32 v1, v1
	v_cvt_u32_f32_e32 v0, v0
	v_readfirstlane_b32 s44, v1
	v_readfirstlane_b32 s2, v0
	s_mul_i32 s3, s20, s44
	s_mul_hi_u32 s46, s20, s2
	s_mul_i32 s45, s41, s2
	s_add_i32 s3, s46, s3
	s_add_i32 s3, s3, s45
	s_mul_i32 s47, s20, s2
	s_mul_i32 s46, s2, s3
	s_mul_hi_u32 s48, s2, s47
	s_mul_hi_u32 s45, s2, s3
	s_add_u32 s46, s48, s46
	s_addc_u32 s45, 0, s45
	s_mul_hi_u32 s49, s44, s47
	s_mul_i32 s47, s44, s47
	s_add_u32 s46, s46, s47
	s_mul_hi_u32 s48, s44, s3
	s_addc_u32 s45, s45, s49
	s_addc_u32 s46, s48, 0
	s_mul_i32 s3, s44, s3
	s_add_u32 s3, s45, s3
	s_addc_u32 s45, 0, s46
	s_add_u32 s46, s2, s3
	s_cselect_b64 s[2:3], -1, 0
	s_cmp_lg_u64 s[2:3], 0
	s_addc_u32 s44, s44, s45
	s_mul_i32 s2, s20, s44
	s_mul_hi_u32 s3, s20, s46
	s_add_i32 s2, s3, s2
	s_mul_i32 s41, s41, s46
	s_add_i32 s2, s2, s41
	s_mul_i32 s20, s20, s46
	s_mul_hi_u32 s41, s44, s20
	s_mul_i32 s45, s44, s20
	s_mul_i32 s48, s46, s2
	s_mul_hi_u32 s20, s46, s20
	s_mul_hi_u32 s47, s46, s2
	s_add_u32 s20, s20, s48
	s_addc_u32 s47, 0, s47
	s_add_u32 s20, s20, s45
	s_mul_hi_u32 s3, s44, s2
	s_addc_u32 s20, s47, s41
	s_addc_u32 s3, s3, 0
	s_mul_i32 s2, s44, s2
	s_add_u32 s2, s20, s2
	s_addc_u32 s20, 0, s3
	s_add_u32 s41, s46, s2
	v_ashrrev_i32_e32 v0, 31, v3
	s_cselect_b64 s[2:3], -1, 0
	v_mov_b32_e32 v1, v0
	s_cmp_lg_u64 s[2:3], 0
	v_lshl_add_u64 v[2:3], v[2:3], 0, v[0:1]
	s_addc_u32 s20, s44, s20
	v_xor_b32_e32 v5, v2, v0
	v_xor_b32_e32 v1, v3, v0
	v_mad_u64_u32 v[2:3], s[2:3], v5, s20, 0
	v_mul_hi_u32 v12, v5, s41
	v_lshl_add_u64 v[2:3], v[12:13], 0, v[2:3]
	v_mad_u64_u32 v[14:15], s[2:3], v1, s41, 0
	v_add_co_u32_e32 v2, vcc, v2, v14
	v_mad_u64_u32 v[12:13], s[2:3], v1, s20, 0
	s_nop 0
	v_addc_co_u32_e32 v2, vcc, v3, v15, vcc
	v_mov_b32_e32 v3, v10
	s_nop 0
	v_addc_co_u32_e32 v13, vcc, 0, v13, vcc
	v_lshl_add_u64 v[2:3], v[2:3], 0, v[12:13]
	v_mul_lo_u32 v7, s43, v2
	v_mul_lo_u32 v12, s42, v3
	v_mad_u64_u32 v[10:11], s[2:3], s42, v2, 0
	v_add3_u32 v7, v11, v12, v7
	v_sub_u32_e32 v11, v1, v7
	v_mov_b32_e32 v12, s43
	v_sub_co_u32_e32 v5, vcc, v5, v10
	s_nop 1
	v_subb_co_u32_e64 v10, s[2:3], v11, v12, vcc
	v_subrev_co_u32_e64 v11, s[2:3], s42, v5
	v_subb_co_u32_e32 v1, vcc, v1, v7, vcc
	s_nop 0
	v_subbrev_co_u32_e64 v10, s[2:3], 0, v10, s[2:3]
	v_cmp_le_u32_e64 s[2:3], s43, v10
	v_cmp_le_u32_e32 vcc, s43, v1
	s_nop 0
	v_cndmask_b32_e64 v12, 0, -1, s[2:3]
	v_cmp_le_u32_e64 s[2:3], s42, v11
	v_cndmask_b32_e64 v7, 0, -1, vcc
	v_cmp_le_u32_e32 vcc, s42, v5
	v_cndmask_b32_e64 v11, 0, -1, s[2:3]
	v_cmp_eq_u32_e64 s[2:3], s43, v10
	v_cndmask_b32_e64 v5, 0, -1, vcc
	v_cmp_eq_u32_e32 vcc, s43, v1
	v_cndmask_b32_e64 v14, v12, v11, s[2:3]
	v_lshl_add_u64 v[10:11], v[2:3], 0, 2
	v_lshl_add_u64 v[12:13], v[2:3], 0, 1
	v_cmp_ne_u32_e64 s[2:3], 0, v14
	v_cndmask_b32_e32 v1, v7, v5, vcc
	v_cmp_ne_u32_e32 vcc, 0, v1
	v_cndmask_b32_e64 v11, v13, v11, s[2:3]
	s_nop 0
	v_cndmask_b32_e32 v1, v3, v11, vcc
	v_cndmask_b32_e64 v3, v12, v10, s[2:3]
	v_cndmask_b32_e32 v2, v2, v3, vcc
	v_xor_b32_e32 v3, s40, v0
	v_xor_b32_e32 v0, v2, v3
	;; [unrolled: 1-line block ×3, first 2 shown]
	v_sub_co_u32_e32 v0, vcc, v0, v3
                                        ; implicit-def: $vgpr2
	s_nop 1
	v_subb_co_u32_e32 v1, vcc, v1, v3, vcc
.LBB7_74:
	s_andn2_saveexec_b64 s[2:3], s[38:39]
	s_cbranch_execz .LBB7_76
; %bb.75:
	v_cvt_f32_u32_e32 v0, s12
	s_sub_i32 s20, 0, s12
	v_rcp_iflag_f32_e32 v0, v0
	s_nop 0
	v_mul_f32_e32 v0, 0x4f7ffffe, v0
	v_cvt_u32_f32_e32 v0, v0
	v_mul_lo_u32 v1, s20, v0
	v_mul_hi_u32 v1, v0, v1
	v_add_u32_e32 v0, v0, v1
	v_mul_hi_u32 v0, v2, v0
	v_mul_lo_u32 v1, v0, s12
	v_sub_u32_e32 v1, v2, v1
	v_add_u32_e32 v3, 1, v0
	v_subrev_u32_e32 v2, s12, v1
	v_cmp_le_u32_e32 vcc, s12, v1
	s_nop 1
	v_cndmask_b32_e32 v1, v1, v2, vcc
	v_cndmask_b32_e32 v0, v0, v3, vcc
	v_add_u32_e32 v2, 1, v0
	v_cmp_le_u32_e32 vcc, s12, v1
	v_mov_b32_e32 v1, 0
	s_nop 0
	v_cndmask_b32_e32 v0, v0, v2, vcc
.LBB7_76:
	s_or_b64 exec, exec, s[2:3]
.LBB7_77:
	s_or_b64 exec, exec, s[36:37]
	v_or_b32_e32 v3, s13, v9
	v_mov_b32_e32 v2, 0
	v_cmp_ne_u64_e32 vcc, 0, v[2:3]
                                        ; implicit-def: $vgpr10_vgpr11
	s_and_saveexec_b64 s[2:3], vcc
	s_xor_b64 s[36:37], exec, s[2:3]
	s_cbranch_execz .LBB7_79
; %bb.78:
	s_ashr_i32 s38, s13, 31
	s_add_u32 s2, s12, s38
	s_mov_b32 s39, s38
	s_addc_u32 s3, s13, s38
	s_xor_b64 s[40:41], s[2:3], s[38:39]
	v_cvt_f32_u32_e32 v3, s40
	v_cvt_f32_u32_e32 v5, s41
	s_sub_u32 s20, 0, s40
	s_subb_u32 s39, 0, s41
	v_ashrrev_i32_e32 v10, 31, v9
	v_fmamk_f32 v3, v5, 0x4f800000, v3
	v_rcp_f32_e32 v3, v3
	v_mov_b32_e32 v11, v10
	v_lshl_add_u64 v[12:13], v[8:9], 0, v[10:11]
	v_xor_b32_e32 v7, v12, v10
	v_mul_f32_e32 v3, 0x5f7ffffc, v3
	v_mul_f32_e32 v5, 0x2f800000, v3
	v_trunc_f32_e32 v5, v5
	v_fmamk_f32 v3, v5, 0xcf800000, v3
	v_cvt_u32_f32_e32 v5, v5
	v_cvt_u32_f32_e32 v3, v3
	v_mov_b32_e32 v15, v2
	v_readfirstlane_b32 s42, v5
	v_readfirstlane_b32 s2, v3
	s_mul_i32 s3, s20, s42
	s_mul_hi_u32 s44, s20, s2
	s_mul_i32 s43, s39, s2
	s_add_i32 s3, s44, s3
	s_add_i32 s3, s3, s43
	s_mul_i32 s45, s20, s2
	s_mul_i32 s44, s2, s3
	s_mul_hi_u32 s46, s2, s45
	s_mul_hi_u32 s43, s2, s3
	s_add_u32 s44, s46, s44
	s_addc_u32 s43, 0, s43
	s_mul_hi_u32 s47, s42, s45
	s_mul_i32 s45, s42, s45
	s_add_u32 s44, s44, s45
	s_mul_hi_u32 s46, s42, s3
	s_addc_u32 s43, s43, s47
	s_addc_u32 s44, s46, 0
	s_mul_i32 s3, s42, s3
	s_add_u32 s3, s43, s3
	s_addc_u32 s43, 0, s44
	s_add_u32 s44, s2, s3
	s_cselect_b64 s[2:3], -1, 0
	s_cmp_lg_u64 s[2:3], 0
	s_addc_u32 s42, s42, s43
	s_mul_i32 s2, s20, s42
	s_mul_hi_u32 s3, s20, s44
	s_add_i32 s2, s3, s2
	s_mul_i32 s39, s39, s44
	s_add_i32 s2, s2, s39
	s_mul_i32 s20, s20, s44
	s_mul_hi_u32 s39, s42, s20
	s_mul_i32 s43, s42, s20
	s_mul_i32 s46, s44, s2
	s_mul_hi_u32 s20, s44, s20
	s_mul_hi_u32 s45, s44, s2
	s_add_u32 s20, s20, s46
	s_addc_u32 s45, 0, s45
	s_add_u32 s20, s20, s43
	s_mul_hi_u32 s3, s42, s2
	s_addc_u32 s20, s45, s39
	s_addc_u32 s3, s3, 0
	s_mul_i32 s2, s42, s2
	s_add_u32 s2, s20, s2
	s_addc_u32 s20, 0, s3
	s_add_u32 s39, s44, s2
	s_cselect_b64 s[2:3], -1, 0
	s_cmp_lg_u64 s[2:3], 0
	s_addc_u32 s20, s42, s20
	v_xor_b32_e32 v5, v13, v10
	v_mad_u64_u32 v[12:13], s[2:3], v7, s20, 0
	v_mul_hi_u32 v14, v7, s39
	v_lshl_add_u64 v[12:13], v[14:15], 0, v[12:13]
	v_mad_u64_u32 v[18:19], s[2:3], v5, s39, 0
	v_add_co_u32_e32 v3, vcc, v12, v18
	v_mad_u64_u32 v[14:15], s[2:3], v5, s20, 0
	s_nop 0
	v_addc_co_u32_e32 v12, vcc, v13, v19, vcc
	v_mov_b32_e32 v13, v2
	s_nop 0
	v_addc_co_u32_e32 v15, vcc, 0, v15, vcc
	v_lshl_add_u64 v[2:3], v[12:13], 0, v[14:15]
	v_mul_lo_u32 v11, s41, v2
	v_mul_lo_u32 v14, s40, v3
	v_mad_u64_u32 v[12:13], s[2:3], s40, v2, 0
	v_add3_u32 v11, v13, v14, v11
	v_sub_u32_e32 v13, v5, v11
	v_mov_b32_e32 v14, s41
	v_sub_co_u32_e32 v7, vcc, v7, v12
	s_nop 1
	v_subb_co_u32_e64 v12, s[2:3], v13, v14, vcc
	v_subrev_co_u32_e64 v13, s[2:3], s40, v7
	v_subb_co_u32_e32 v5, vcc, v5, v11, vcc
	s_nop 0
	v_subbrev_co_u32_e64 v12, s[2:3], 0, v12, s[2:3]
	v_cmp_le_u32_e64 s[2:3], s41, v12
	v_cmp_le_u32_e32 vcc, s41, v5
	s_nop 0
	v_cndmask_b32_e64 v14, 0, -1, s[2:3]
	v_cmp_le_u32_e64 s[2:3], s40, v13
	v_cndmask_b32_e64 v11, 0, -1, vcc
	v_cmp_le_u32_e32 vcc, s40, v7
	v_cndmask_b32_e64 v13, 0, -1, s[2:3]
	v_cmp_eq_u32_e64 s[2:3], s41, v12
	v_cndmask_b32_e64 v7, 0, -1, vcc
	v_cmp_eq_u32_e32 vcc, s41, v5
	v_cndmask_b32_e64 v17, v14, v13, s[2:3]
	v_lshl_add_u64 v[12:13], v[2:3], 0, 2
	v_lshl_add_u64 v[14:15], v[2:3], 0, 1
	v_cmp_ne_u32_e64 s[2:3], 0, v17
	v_cndmask_b32_e32 v5, v11, v7, vcc
	v_cmp_ne_u32_e32 vcc, 0, v5
	v_cndmask_b32_e64 v5, v14, v12, s[2:3]
	v_cndmask_b32_e64 v13, v15, v13, s[2:3]
	v_cndmask_b32_e32 v2, v2, v5, vcc
	v_xor_b32_e32 v5, s38, v10
	v_cndmask_b32_e32 v3, v3, v13, vcc
	v_xor_b32_e32 v2, v2, v5
	v_xor_b32_e32 v3, v3, v5
	v_sub_co_u32_e32 v10, vcc, v2, v5
	s_nop 1
	v_subb_co_u32_e32 v11, vcc, v3, v5, vcc
.LBB7_79:
	s_andn2_saveexec_b64 s[2:3], s[36:37]
	s_cbranch_execz .LBB7_81
; %bb.80:
	v_cvt_f32_u32_e32 v2, s12
	s_sub_i32 s20, 0, s12
	v_mov_b32_e32 v11, 0
	v_rcp_iflag_f32_e32 v2, v2
	s_nop 0
	v_mul_f32_e32 v2, 0x4f7ffffe, v2
	v_cvt_u32_f32_e32 v2, v2
	v_mul_lo_u32 v3, s20, v2
	v_mul_hi_u32 v3, v2, v3
	v_add_u32_e32 v2, v2, v3
	v_mul_hi_u32 v2, v8, v2
	v_mul_lo_u32 v3, v2, s12
	v_sub_u32_e32 v3, v8, v3
	v_add_u32_e32 v5, 1, v2
	v_subrev_u32_e32 v7, s12, v3
	v_cmp_le_u32_e32 vcc, s12, v3
	s_nop 1
	v_cndmask_b32_e32 v3, v3, v7, vcc
	v_cndmask_b32_e32 v2, v2, v5, vcc
	v_add_u32_e32 v5, 1, v2
	v_cmp_le_u32_e32 vcc, s12, v3
	s_nop 1
	v_cndmask_b32_e32 v10, v2, v5, vcc
.LBB7_81:
	s_or_b64 exec, exec, s[2:3]
	v_mul_lo_u32 v5, v1, s12
	v_mul_lo_u32 v7, v0, s13
	v_mad_u64_u32 v[2:3], s[2:3], v0, s12, 0
	v_add3_u32 v3, v3, v7, v5
	v_cmp_gt_i64_e32 vcc, v[2:3], v[8:9]
	v_mov_b64_e32 v[2:3], s[10:11]
	v_mad_u64_u32 v[2:3], s[2:3], v0, s12, v[2:3]
	v_add3_u32 v3, v5, v3, v7
	v_cmp_ge_i64_e64 s[2:3], v[8:9], v[2:3]
	s_or_b64 s[2:3], vcc, s[2:3]
	v_cmp_gt_i64_e32 vcc, s[14:15], v[10:11]
	v_cndmask_b32_e64 v2, 0, 1, s[2:3]
	s_mov_b32 s2, 0
	v_mov_b32_e32 v3, s2
	v_lshl_add_u64 v[14:15], v[0:1], 0, v[2:3]
	v_mov_b32_e32 v0, s15
	v_cndmask_b32_e32 v11, v0, v11, vcc
	v_mov_b32_e32 v0, s14
	v_cndmask_b32_e32 v10, v0, v10, vcc
	v_cmp_le_i64_e32 vcc, v[14:15], v[10:11]
	s_and_saveexec_b64 s[2:3], vcc
	s_cbranch_execz .LBB7_84
; %bb.82:
	global_load_dwordx4 v[0:3], v6, s[4:5]
	v_mul_lo_u32 v17, s13, v14
	v_mul_lo_u32 v20, s12, v15
	v_mad_u64_u32 v[18:19], s[36:37], s12, v14, 0
	v_add3_u32 v17, v19, v20, v17
	v_sub_co_u32_e32 v8, vcc, v8, v18
	v_mov_b32_e32 v7, 0
	s_nop 0
	v_subb_co_u32_e32 v9, vcc, v9, v17, vcc
	v_mul_lo_u32 v17, s19, v8
	v_mul_lo_u32 v18, s18, v9
	v_mad_u64_u32 v[8:9], s[36:37], s18, v8, 0
	v_lshl_add_u64 v[12:13], s[4:5], 0, v[6:7]
	v_mov_b32_e32 v5, v7
	v_lshl_add_u64 v[6:7], v[14:15], 0, -1
	v_add3_u32 v9, v9, v18, v17
	v_mul_lo_u32 v17, s17, v14
	v_mul_lo_u32 v18, s16, v15
	v_mad_u64_u32 v[14:15], s[36:37], s16, v14, 0
	v_add3_u32 v15, v15, v18, v17
	s_mul_i32 s20, s12, s19
	s_mul_hi_u32 s38, s12, s18
	v_lshlrev_b64 v[14:15], 4, v[14:15]
	s_add_i32 s20, s38, s20
	s_mul_i32 s38, s13, s18
	v_lshl_add_u64 v[8:9], v[8:9], 4, v[14:15]
	s_add_i32 s39, s20, s38
	s_mul_i32 s38, s12, s18
	v_lshl_add_u64 v[4:5], v[8:9], 0, v[4:5]
	s_lshl_b64 s[36:37], s[16:17], 4
	s_lshl_b64 s[38:39], s[38:39], 4
	v_lshl_add_u64 v[4:5], s[6:7], 0, v[4:5]
	s_sub_u32 s36, s36, s38
	v_lshl_add_u64 v[4:5], v[4:5], 0, 8
	s_subb_u32 s37, s37, s39
	s_mov_b64 s[38:39], 0
.LBB7_83:                               ; =>This Inner Loop Header: Depth=1
	global_load_dwordx4 v[18:21], v[4:5], off offset:-8
	v_lshl_add_u64 v[6:7], v[6:7], 0, 1
	v_cmp_ge_i64_e32 vcc, v[6:7], v[10:11]
	v_lshl_add_u64 v[4:5], v[4:5], 0, s[36:37]
	s_or_b64 s[38:39], vcc, s[38:39]
	s_waitcnt vmcnt(0)
	v_add_f64 v[0:1], v[0:1], v[18:19]
	v_add_f64 v[2:3], v[2:3], v[20:21]
	global_store_dwordx4 v[12:13], v[0:3], off
	s_andn2_b64 exec, exec, s[38:39]
	s_cbranch_execnz .LBB7_83
.LBB7_84:
	s_or_b64 exec, exec, s[2:3]
	v_add_u32_e32 v16, 0x100, v16
	s_or_b64 exec, exec, s[66:67]
	v_cmp_gt_i32_e32 vcc, s70, v16
	s_and_saveexec_b64 s[2:3], vcc
	s_cbranch_execz .LBB7_111
.LBB7_85:
	s_and_b64 vcc, exec, s[0:1]
	s_cbranch_vccnz .LBB7_91
; %bb.86:
	v_mov_b32_e32 v0, 0
	s_andn2_b64 vcc, exec, s[64:65]
	v_mov_b32_e32 v4, 0
	v_mov_b32_e32 v6, 0
	s_cbranch_vccnz .LBB7_95
; %bb.87:
	s_add_i32 s69, s69, 1
	s_cmp_eq_u32 s68, 2
	s_cbranch_scc1 .LBB7_92
; %bb.88:
	s_and_b32 s20, s69, 28
	v_mov_b32_e32 v6, 0
	s_mov_b32 s56, 0
	v_mov_b32_e32 v2, v16
	v_mov_b32_e32 v4, 0
	v_mov_b32_e32 v0, 0
.LBB7_89:                               ; =>This Inner Loop Header: Depth=1
	s_load_dwordx8 s[36:43], s[62:63], 0x0
	s_load_dwordx4 s[0:3], s[62:63], 0x20
	s_load_dwordx4 s[52:55], s[62:63], 0xe0
	s_load_dwordx8 s[44:51], s[62:63], 0xc0
	s_add_i32 s56, s56, 4
	s_waitcnt lgkmcnt(0)
	v_mul_hi_u32 v1, s37, v2
	v_add_u32_e32 v1, v2, v1
	v_lshrrev_b32_e32 v1, s38, v1
	v_mul_lo_u32 v3, v1, s36
	v_mul_hi_u32 v5, s40, v1
	v_sub_u32_e32 v2, v2, v3
	v_add_u32_e32 v3, v1, v5
	v_lshrrev_b32_e32 v3, s41, v3
	v_mul_lo_u32 v8, v3, s39
	v_mul_hi_u32 v9, s43, v3
	v_sub_u32_e32 v1, v1, v8
	v_add_u32_e32 v8, v3, v9
	v_mul_lo_u32 v5, v2, s44
	v_mul_lo_u32 v7, v2, s46
	;; [unrolled: 1-line block ×6, first 2 shown]
	v_lshrrev_b32_e32 v8, s0, v8
	v_add3_u32 v1, v2, v4, v1
	v_mul_lo_u32 v2, v8, s42
	v_mul_hi_u32 v4, s2, v8
	v_sub_u32_e32 v2, v3, v2
	v_add_u32_e32 v3, v8, v4
	v_add3_u32 v5, v5, v6, v9
	v_add3_u32 v0, v7, v0, v10
	v_mul_lo_u32 v4, v2, s50
	v_mul_lo_u32 v7, v2, s51
	;; [unrolled: 1-line block ×3, first 2 shown]
	v_lshrrev_b32_e32 v2, s3, v3
	v_mul_lo_u32 v3, v2, s1
	s_add_u32 s62, s62, 48
	v_sub_u32_e32 v3, v8, v3
	s_addc_u32 s63, s63, 0
	v_mul_lo_u32 v6, v3, s53
	v_mul_lo_u32 v8, v3, s54
	;; [unrolled: 1-line block ×3, first 2 shown]
	s_cmp_eq_u32 s20, s56
	v_add3_u32 v6, v4, v5, v6
	v_add3_u32 v0, v9, v0, v3
	;; [unrolled: 1-line block ×3, first 2 shown]
	s_cbranch_scc0 .LBB7_89
; %bb.90:
	v_mov_b32_e32 v1, v0
	s_and_b32 s2, s69, 3
	s_cmp_eq_u32 s2, 0
	s_cbranch_scc0 .LBB7_93
	s_branch .LBB7_95
.LBB7_91:
                                        ; implicit-def: $vgpr0
                                        ; implicit-def: $vgpr4
                                        ; implicit-def: $vgpr6
	s_branch .LBB7_96
.LBB7_92:
	v_mov_b32_e32 v4, 0
	s_mov_b32 s20, 0
	v_mov_b32_e32 v1, v4
                                        ; implicit-def: $vgpr0
	v_mov_b32_e32 v2, v16
	v_mov_b32_e32 v6, v4
	s_and_b32 s2, s69, 3
	s_cmp_eq_u32 s2, 0
	s_cbranch_scc1 .LBB7_95
.LBB7_93:
	s_mul_i32 s0, s20, 12
	s_add_u32 s0, s27, s0
	s_addc_u32 s1, s33, 0
	s_add_u32 s0, s0, 4
	s_addc_u32 s1, s1, 0
.LBB7_94:                               ; =>This Inner Loop Header: Depth=1
	s_load_dwordx2 s[36:37], s[0:1], 0x0
	s_load_dword s3, s[0:1], 0x8
	s_load_dwordx2 s[38:39], s[0:1], 0xc0
	s_load_dword s20, s[0:1], 0xc8
	v_mov_b32_e32 v0, v1
	s_waitcnt lgkmcnt(0)
	v_mul_hi_u32 v1, s37, v2
	v_add_u32_e32 v1, v2, v1
	v_lshrrev_b32_e32 v1, s3, v1
	v_mul_lo_u32 v3, v1, s36
	s_add_u32 s0, s0, 12
	v_sub_u32_e32 v3, v2, v3
	s_addc_u32 s1, s1, 0
	s_add_i32 s2, s2, -1
	v_mov_b32_e32 v2, v1
	v_mad_u64_u32 v[0:1], s[36:37], v3, s20, v[0:1]
	s_cmp_lg_u32 s2, 0
	v_mad_u64_u32 v[6:7], s[36:37], v3, s38, v[6:7]
	v_mad_u64_u32 v[4:5], s[36:37], v3, s39, v[4:5]
	v_mov_b32_e32 v1, v0
	s_cbranch_scc1 .LBB7_94
.LBB7_95:
	s_cbranch_execnz .LBB7_98
.LBB7_96:
	v_mul_hi_u32 v0, s22, v16
	v_add_u32_e32 v0, v16, v0
	v_lshrrev_b32_e32 v1, s23, v0
	v_mul_lo_u32 v0, v1, s21
	v_sub_u32_e32 v2, v16, v0
	v_mul_lo_u32 v6, v2, s28
	v_mul_lo_u32 v0, v2, s30
	s_andn2_b64 vcc, exec, s[60:61]
	v_mul_lo_u32 v4, v2, s29
	s_cbranch_vccnz .LBB7_98
; %bb.97:
	v_mul_hi_u32 v2, s25, v1
	v_add_u32_e32 v2, v1, v2
	v_lshrrev_b32_e32 v2, s26, v2
	v_mul_lo_u32 v2, v2, s24
	v_sub_u32_e32 v1, v1, v2
	v_mad_u64_u32 v[6:7], s[0:1], v1, s31, v[6:7]
	v_mad_u64_u32 v[4:5], s[0:1], v1, s34, v[4:5]
	;; [unrolled: 1-line block ×3, first 2 shown]
.LBB7_98:
	global_load_dwordx2 v[8:9], v0, s[8:9]
	v_mov_b64_e32 v[0:1], 0
	s_waitcnt vmcnt(0)
	v_cmp_lt_i64_e32 vcc, s[10:11], v[8:9]
	s_and_saveexec_b64 s[2:3], vcc
	s_cbranch_execz .LBB7_104
; %bb.99:
	v_mov_b32_e32 v0, s11
	v_subrev_co_u32_e32 v2, vcc, s10, v8
	v_mov_b32_e32 v10, 0
	s_nop 0
	v_subb_co_u32_e32 v3, vcc, v9, v0, vcc
	v_or_b32_e32 v11, s13, v3
	v_cmp_ne_u64_e32 vcc, 0, v[10:11]
                                        ; implicit-def: $vgpr0_vgpr1
	s_and_saveexec_b64 s[0:1], vcc
	s_xor_b64 s[8:9], exec, s[0:1]
	s_cbranch_execz .LBB7_101
; %bb.100:
	s_ashr_i32 s20, s13, 31
	s_add_u32 s0, s12, s20
	s_mov_b32 s21, s20
	s_addc_u32 s1, s13, s20
	s_xor_b64 s[22:23], s[0:1], s[20:21]
	v_cvt_f32_u32_e32 v0, s22
	v_cvt_f32_u32_e32 v1, s23
	s_sub_u32 s21, 0, s22
	s_subb_u32 s24, 0, s23
	v_mov_b32_e32 v13, v10
	v_fmamk_f32 v0, v1, 0x4f800000, v0
	v_rcp_f32_e32 v0, v0
	s_nop 0
	v_mul_f32_e32 v0, 0x5f7ffffc, v0
	v_mul_f32_e32 v1, 0x2f800000, v0
	v_trunc_f32_e32 v1, v1
	v_fmamk_f32 v0, v1, 0xcf800000, v0
	v_cvt_u32_f32_e32 v1, v1
	v_cvt_u32_f32_e32 v0, v0
	v_readfirstlane_b32 s25, v1
	v_readfirstlane_b32 s0, v0
	s_mul_i32 s1, s21, s25
	s_mul_hi_u32 s27, s21, s0
	s_mul_i32 s26, s24, s0
	s_add_i32 s1, s27, s1
	s_add_i32 s1, s1, s26
	s_mul_i32 s28, s21, s0
	s_mul_i32 s27, s0, s1
	s_mul_hi_u32 s29, s0, s28
	s_mul_hi_u32 s26, s0, s1
	s_add_u32 s27, s29, s27
	s_addc_u32 s26, 0, s26
	s_mul_hi_u32 s30, s25, s28
	s_mul_i32 s28, s25, s28
	s_add_u32 s27, s27, s28
	s_mul_hi_u32 s29, s25, s1
	s_addc_u32 s26, s26, s30
	s_addc_u32 s27, s29, 0
	s_mul_i32 s1, s25, s1
	s_add_u32 s1, s26, s1
	s_addc_u32 s26, 0, s27
	s_add_u32 s27, s0, s1
	s_cselect_b64 s[0:1], -1, 0
	s_cmp_lg_u64 s[0:1], 0
	s_addc_u32 s25, s25, s26
	s_mul_i32 s0, s21, s25
	s_mul_hi_u32 s1, s21, s27
	s_add_i32 s0, s1, s0
	s_mul_i32 s24, s24, s27
	s_add_i32 s0, s0, s24
	s_mul_i32 s21, s21, s27
	s_mul_hi_u32 s24, s25, s21
	s_mul_i32 s26, s25, s21
	s_mul_i32 s29, s27, s0
	s_mul_hi_u32 s21, s27, s21
	s_mul_hi_u32 s28, s27, s0
	s_add_u32 s21, s21, s29
	s_addc_u32 s28, 0, s28
	s_add_u32 s21, s21, s26
	s_mul_hi_u32 s1, s25, s0
	s_addc_u32 s21, s28, s24
	s_addc_u32 s1, s1, 0
	s_mul_i32 s0, s25, s0
	s_add_u32 s0, s21, s0
	s_addc_u32 s21, 0, s1
	s_add_u32 s24, s27, s0
	v_ashrrev_i32_e32 v0, 31, v3
	s_cselect_b64 s[0:1], -1, 0
	v_mov_b32_e32 v1, v0
	s_cmp_lg_u64 s[0:1], 0
	v_lshl_add_u64 v[2:3], v[2:3], 0, v[0:1]
	s_addc_u32 s21, s25, s21
	v_xor_b32_e32 v5, v2, v0
	v_xor_b32_e32 v1, v3, v0
	v_mad_u64_u32 v[2:3], s[0:1], v5, s21, 0
	v_mul_hi_u32 v12, v5, s24
	v_lshl_add_u64 v[2:3], v[12:13], 0, v[2:3]
	v_mad_u64_u32 v[14:15], s[0:1], v1, s24, 0
	v_add_co_u32_e32 v2, vcc, v2, v14
	v_mad_u64_u32 v[12:13], s[0:1], v1, s21, 0
	s_nop 0
	v_addc_co_u32_e32 v2, vcc, v3, v15, vcc
	v_mov_b32_e32 v3, v10
	s_nop 0
	v_addc_co_u32_e32 v13, vcc, 0, v13, vcc
	v_lshl_add_u64 v[2:3], v[2:3], 0, v[12:13]
	v_mul_lo_u32 v7, s23, v2
	v_mul_lo_u32 v12, s22, v3
	v_mad_u64_u32 v[10:11], s[0:1], s22, v2, 0
	v_add3_u32 v7, v11, v12, v7
	v_sub_u32_e32 v11, v1, v7
	v_mov_b32_e32 v12, s23
	v_sub_co_u32_e32 v5, vcc, v5, v10
	s_nop 1
	v_subb_co_u32_e64 v10, s[0:1], v11, v12, vcc
	v_subrev_co_u32_e64 v11, s[0:1], s22, v5
	v_subb_co_u32_e32 v1, vcc, v1, v7, vcc
	s_nop 0
	v_subbrev_co_u32_e64 v10, s[0:1], 0, v10, s[0:1]
	v_cmp_le_u32_e64 s[0:1], s23, v10
	v_cmp_le_u32_e32 vcc, s23, v1
	s_nop 0
	v_cndmask_b32_e64 v12, 0, -1, s[0:1]
	v_cmp_le_u32_e64 s[0:1], s22, v11
	v_cndmask_b32_e64 v7, 0, -1, vcc
	v_cmp_le_u32_e32 vcc, s22, v5
	v_cndmask_b32_e64 v11, 0, -1, s[0:1]
	v_cmp_eq_u32_e64 s[0:1], s23, v10
	v_cndmask_b32_e64 v5, 0, -1, vcc
	v_cmp_eq_u32_e32 vcc, s23, v1
	v_cndmask_b32_e64 v14, v12, v11, s[0:1]
	v_lshl_add_u64 v[10:11], v[2:3], 0, 2
	v_lshl_add_u64 v[12:13], v[2:3], 0, 1
	v_cmp_ne_u32_e64 s[0:1], 0, v14
	v_cndmask_b32_e32 v1, v7, v5, vcc
	v_cmp_ne_u32_e32 vcc, 0, v1
	v_cndmask_b32_e64 v11, v13, v11, s[0:1]
	s_nop 0
	v_cndmask_b32_e32 v1, v3, v11, vcc
	v_cndmask_b32_e64 v3, v12, v10, s[0:1]
	v_cndmask_b32_e32 v2, v2, v3, vcc
	v_xor_b32_e32 v3, s20, v0
	v_xor_b32_e32 v0, v2, v3
	v_xor_b32_e32 v1, v1, v3
	v_sub_co_u32_e32 v0, vcc, v0, v3
                                        ; implicit-def: $vgpr2
	s_nop 1
	v_subb_co_u32_e32 v1, vcc, v1, v3, vcc
.LBB7_101:
	s_andn2_saveexec_b64 s[0:1], s[8:9]
	s_cbranch_execz .LBB7_103
; %bb.102:
	v_cvt_f32_u32_e32 v0, s12
	s_sub_i32 s8, 0, s12
	v_rcp_iflag_f32_e32 v0, v0
	s_nop 0
	v_mul_f32_e32 v0, 0x4f7ffffe, v0
	v_cvt_u32_f32_e32 v0, v0
	v_mul_lo_u32 v1, s8, v0
	v_mul_hi_u32 v1, v0, v1
	v_add_u32_e32 v0, v0, v1
	v_mul_hi_u32 v0, v2, v0
	v_mul_lo_u32 v1, v0, s12
	v_sub_u32_e32 v1, v2, v1
	v_add_u32_e32 v3, 1, v0
	v_subrev_u32_e32 v2, s12, v1
	v_cmp_le_u32_e32 vcc, s12, v1
	s_nop 1
	v_cndmask_b32_e32 v1, v1, v2, vcc
	v_cndmask_b32_e32 v0, v0, v3, vcc
	v_add_u32_e32 v2, 1, v0
	v_cmp_le_u32_e32 vcc, s12, v1
	v_mov_b32_e32 v1, 0
	s_nop 0
	v_cndmask_b32_e32 v0, v0, v2, vcc
.LBB7_103:
	s_or_b64 exec, exec, s[0:1]
.LBB7_104:
	s_or_b64 exec, exec, s[2:3]
	v_or_b32_e32 v3, s13, v9
	v_mov_b32_e32 v2, 0
	v_cmp_ne_u64_e32 vcc, 0, v[2:3]
                                        ; implicit-def: $vgpr10_vgpr11
	s_and_saveexec_b64 s[0:1], vcc
	s_xor_b64 s[2:3], exec, s[0:1]
	s_cbranch_execz .LBB7_106
; %bb.105:
	s_ashr_i32 s8, s13, 31
	s_add_u32 s0, s12, s8
	s_mov_b32 s9, s8
	s_addc_u32 s1, s13, s8
	s_xor_b64 s[20:21], s[0:1], s[8:9]
	v_cvt_f32_u32_e32 v3, s20
	v_cvt_f32_u32_e32 v5, s21
	s_sub_u32 s9, 0, s20
	s_subb_u32 s22, 0, s21
	v_ashrrev_i32_e32 v10, 31, v9
	v_fmamk_f32 v3, v5, 0x4f800000, v3
	v_rcp_f32_e32 v3, v3
	v_mov_b32_e32 v11, v10
	v_lshl_add_u64 v[12:13], v[8:9], 0, v[10:11]
	v_xor_b32_e32 v7, v12, v10
	v_mul_f32_e32 v3, 0x5f7ffffc, v3
	v_mul_f32_e32 v5, 0x2f800000, v3
	v_trunc_f32_e32 v5, v5
	v_fmamk_f32 v3, v5, 0xcf800000, v3
	v_cvt_u32_f32_e32 v5, v5
	v_cvt_u32_f32_e32 v3, v3
	v_mov_b32_e32 v15, v2
	v_readfirstlane_b32 s23, v5
	v_readfirstlane_b32 s0, v3
	s_mul_i32 s1, s9, s23
	s_mul_hi_u32 s25, s9, s0
	s_mul_i32 s24, s22, s0
	s_add_i32 s1, s25, s1
	s_add_i32 s1, s1, s24
	s_mul_i32 s26, s9, s0
	s_mul_i32 s25, s0, s1
	s_mul_hi_u32 s27, s0, s26
	s_mul_hi_u32 s24, s0, s1
	s_add_u32 s25, s27, s25
	s_addc_u32 s24, 0, s24
	s_mul_hi_u32 s28, s23, s26
	s_mul_i32 s26, s23, s26
	s_add_u32 s25, s25, s26
	s_mul_hi_u32 s27, s23, s1
	s_addc_u32 s24, s24, s28
	s_addc_u32 s25, s27, 0
	s_mul_i32 s1, s23, s1
	s_add_u32 s1, s24, s1
	s_addc_u32 s24, 0, s25
	s_add_u32 s25, s0, s1
	s_cselect_b64 s[0:1], -1, 0
	s_cmp_lg_u64 s[0:1], 0
	s_addc_u32 s23, s23, s24
	s_mul_i32 s0, s9, s23
	s_mul_hi_u32 s1, s9, s25
	s_add_i32 s0, s1, s0
	s_mul_i32 s22, s22, s25
	s_add_i32 s0, s0, s22
	s_mul_i32 s9, s9, s25
	s_mul_hi_u32 s22, s23, s9
	s_mul_i32 s24, s23, s9
	s_mul_i32 s27, s25, s0
	s_mul_hi_u32 s9, s25, s9
	s_mul_hi_u32 s26, s25, s0
	s_add_u32 s9, s9, s27
	s_addc_u32 s26, 0, s26
	s_add_u32 s9, s9, s24
	s_mul_hi_u32 s1, s23, s0
	s_addc_u32 s9, s26, s22
	s_addc_u32 s1, s1, 0
	s_mul_i32 s0, s23, s0
	s_add_u32 s0, s9, s0
	s_addc_u32 s9, 0, s1
	s_add_u32 s22, s25, s0
	s_cselect_b64 s[0:1], -1, 0
	s_cmp_lg_u64 s[0:1], 0
	s_addc_u32 s9, s23, s9
	v_xor_b32_e32 v5, v13, v10
	v_mad_u64_u32 v[12:13], s[0:1], v7, s9, 0
	v_mul_hi_u32 v14, v7, s22
	v_lshl_add_u64 v[12:13], v[14:15], 0, v[12:13]
	v_mad_u64_u32 v[16:17], s[0:1], v5, s22, 0
	v_add_co_u32_e32 v3, vcc, v12, v16
	v_mad_u64_u32 v[14:15], s[0:1], v5, s9, 0
	s_nop 0
	v_addc_co_u32_e32 v12, vcc, v13, v17, vcc
	v_mov_b32_e32 v13, v2
	s_nop 0
	v_addc_co_u32_e32 v15, vcc, 0, v15, vcc
	v_lshl_add_u64 v[2:3], v[12:13], 0, v[14:15]
	v_mul_lo_u32 v11, s21, v2
	v_mul_lo_u32 v14, s20, v3
	v_mad_u64_u32 v[12:13], s[0:1], s20, v2, 0
	v_add3_u32 v11, v13, v14, v11
	v_sub_u32_e32 v13, v5, v11
	v_mov_b32_e32 v14, s21
	v_sub_co_u32_e32 v7, vcc, v7, v12
	s_nop 1
	v_subb_co_u32_e64 v12, s[0:1], v13, v14, vcc
	v_subrev_co_u32_e64 v13, s[0:1], s20, v7
	v_subb_co_u32_e32 v5, vcc, v5, v11, vcc
	s_nop 0
	v_subbrev_co_u32_e64 v12, s[0:1], 0, v12, s[0:1]
	v_cmp_le_u32_e64 s[0:1], s21, v12
	v_cmp_le_u32_e32 vcc, s21, v5
	s_nop 0
	v_cndmask_b32_e64 v14, 0, -1, s[0:1]
	v_cmp_le_u32_e64 s[0:1], s20, v13
	v_cndmask_b32_e64 v11, 0, -1, vcc
	v_cmp_le_u32_e32 vcc, s20, v7
	v_cndmask_b32_e64 v13, 0, -1, s[0:1]
	v_cmp_eq_u32_e64 s[0:1], s21, v12
	v_cndmask_b32_e64 v7, 0, -1, vcc
	v_cmp_eq_u32_e32 vcc, s21, v5
	v_cndmask_b32_e64 v16, v14, v13, s[0:1]
	v_lshl_add_u64 v[12:13], v[2:3], 0, 2
	v_lshl_add_u64 v[14:15], v[2:3], 0, 1
	v_cmp_ne_u32_e64 s[0:1], 0, v16
	v_cndmask_b32_e32 v5, v11, v7, vcc
	v_cmp_ne_u32_e32 vcc, 0, v5
	v_cndmask_b32_e64 v5, v14, v12, s[0:1]
	v_cndmask_b32_e64 v13, v15, v13, s[0:1]
	v_cndmask_b32_e32 v2, v2, v5, vcc
	v_xor_b32_e32 v5, s8, v10
	v_cndmask_b32_e32 v3, v3, v13, vcc
	v_xor_b32_e32 v2, v2, v5
	v_xor_b32_e32 v3, v3, v5
	v_sub_co_u32_e32 v10, vcc, v2, v5
	s_nop 1
	v_subb_co_u32_e32 v11, vcc, v3, v5, vcc
.LBB7_106:
	s_andn2_saveexec_b64 s[0:1], s[2:3]
	s_cbranch_execz .LBB7_108
; %bb.107:
	v_cvt_f32_u32_e32 v2, s12
	s_sub_i32 s2, 0, s12
	v_mov_b32_e32 v11, 0
	v_rcp_iflag_f32_e32 v2, v2
	s_nop 0
	v_mul_f32_e32 v2, 0x4f7ffffe, v2
	v_cvt_u32_f32_e32 v2, v2
	v_mul_lo_u32 v3, s2, v2
	v_mul_hi_u32 v3, v2, v3
	v_add_u32_e32 v2, v2, v3
	v_mul_hi_u32 v2, v8, v2
	v_mul_lo_u32 v3, v2, s12
	v_sub_u32_e32 v3, v8, v3
	v_add_u32_e32 v5, 1, v2
	v_subrev_u32_e32 v7, s12, v3
	v_cmp_le_u32_e32 vcc, s12, v3
	s_nop 1
	v_cndmask_b32_e32 v3, v3, v7, vcc
	v_cndmask_b32_e32 v2, v2, v5, vcc
	v_add_u32_e32 v5, 1, v2
	v_cmp_le_u32_e32 vcc, s12, v3
	s_nop 1
	v_cndmask_b32_e32 v10, v2, v5, vcc
.LBB7_108:
	s_or_b64 exec, exec, s[0:1]
	v_mul_lo_u32 v5, v1, s12
	v_mul_lo_u32 v7, v0, s13
	v_mad_u64_u32 v[2:3], s[0:1], v0, s12, 0
	v_add3_u32 v3, v3, v7, v5
	v_cmp_gt_i64_e32 vcc, v[2:3], v[8:9]
	v_mov_b64_e32 v[2:3], s[10:11]
	v_mad_u64_u32 v[2:3], s[0:1], v0, s12, v[2:3]
	v_add3_u32 v3, v5, v3, v7
	v_cmp_ge_i64_e64 s[0:1], v[8:9], v[2:3]
	s_or_b64 s[0:1], vcc, s[0:1]
	v_cmp_gt_i64_e32 vcc, s[14:15], v[10:11]
	v_cndmask_b32_e64 v2, 0, 1, s[0:1]
	s_mov_b32 s0, 0
	v_mov_b32_e32 v3, s0
	v_lshl_add_u64 v[14:15], v[0:1], 0, v[2:3]
	v_mov_b32_e32 v0, s15
	v_cndmask_b32_e32 v11, v0, v11, vcc
	v_mov_b32_e32 v0, s14
	v_cndmask_b32_e32 v10, v0, v10, vcc
	v_cmp_le_i64_e32 vcc, v[14:15], v[10:11]
	s_and_b64 exec, exec, vcc
	s_cbranch_execz .LBB7_111
; %bb.109:
	global_load_dwordx4 v[0:3], v6, s[4:5]
	v_mul_lo_u32 v18, s13, v14
	v_mul_lo_u32 v19, s12, v15
	v_mad_u64_u32 v[16:17], s[0:1], s12, v14, 0
	v_add3_u32 v17, v17, v19, v18
	v_sub_co_u32_e32 v8, vcc, v8, v16
	v_mov_b32_e32 v7, 0
	s_nop 0
	v_subb_co_u32_e32 v9, vcc, v9, v17, vcc
	v_mul_lo_u32 v16, s19, v8
	v_mul_lo_u32 v17, s18, v9
	v_mad_u64_u32 v[8:9], s[0:1], s18, v8, 0
	v_lshl_add_u64 v[12:13], s[4:5], 0, v[6:7]
	v_mov_b32_e32 v5, v7
	v_lshl_add_u64 v[6:7], v[14:15], 0, -1
	v_add3_u32 v9, v9, v17, v16
	v_mul_lo_u32 v16, s17, v14
	v_mul_lo_u32 v17, s16, v15
	v_mad_u64_u32 v[14:15], s[0:1], s16, v14, 0
	v_add3_u32 v15, v15, v17, v16
	s_mul_i32 s2, s12, s19
	s_mul_hi_u32 s3, s12, s18
	v_lshlrev_b64 v[14:15], 4, v[14:15]
	s_add_i32 s2, s3, s2
	s_mul_i32 s3, s13, s18
	v_lshl_add_u64 v[8:9], v[8:9], 4, v[14:15]
	s_add_i32 s3, s2, s3
	s_mul_i32 s2, s12, s18
	v_lshl_add_u64 v[4:5], v[8:9], 0, v[4:5]
	s_lshl_b64 s[0:1], s[16:17], 4
	s_lshl_b64 s[2:3], s[2:3], 4
	v_lshl_add_u64 v[4:5], s[6:7], 0, v[4:5]
	s_sub_u32 s0, s0, s2
	v_lshl_add_u64 v[4:5], v[4:5], 0, 8
	s_subb_u32 s1, s1, s3
	s_mov_b64 s[2:3], 0
.LBB7_110:                              ; =>This Inner Loop Header: Depth=1
	global_load_dwordx4 v[14:17], v[4:5], off offset:-8
	v_lshl_add_u64 v[6:7], v[6:7], 0, 1
	v_cmp_ge_i64_e32 vcc, v[6:7], v[10:11]
	v_lshl_add_u64 v[4:5], v[4:5], 0, s[0:1]
	s_or_b64 s[2:3], vcc, s[2:3]
	s_waitcnt vmcnt(0)
	v_add_f64 v[0:1], v[0:1], v[14:15]
	v_add_f64 v[2:3], v[2:3], v[16:17]
	global_store_dwordx4 v[12:13], v[0:3], off
	s_andn2_b64 exec, exec, s[2:3]
	s_cbranch_execnz .LBB7_110
.LBB7_111:
	s_endpgm
	.section	.rodata,"a",@progbits
	.p2align	6, 0x0
	.amdhsa_kernel _ZN2at6native12_GLOBAL__N_135_unfold_backward_elementwise_kernelILi256ELi4EZNS1_32_unfold_backward_internal_kernelIN3c107complexIdEEEEvRNS_14TensorIteratorEllllllEUliE_EEviT1_
		.amdhsa_group_segment_fixed_size 0
		.amdhsa_private_segment_fixed_size 0
		.amdhsa_kernarg_size 464
		.amdhsa_user_sgpr_count 2
		.amdhsa_user_sgpr_dispatch_ptr 0
		.amdhsa_user_sgpr_queue_ptr 0
		.amdhsa_user_sgpr_kernarg_segment_ptr 1
		.amdhsa_user_sgpr_dispatch_id 0
		.amdhsa_user_sgpr_kernarg_preload_length 0
		.amdhsa_user_sgpr_kernarg_preload_offset 0
		.amdhsa_user_sgpr_private_segment_size 0
		.amdhsa_uses_dynamic_stack 0
		.amdhsa_enable_private_segment 0
		.amdhsa_system_sgpr_workgroup_id_x 1
		.amdhsa_system_sgpr_workgroup_id_y 0
		.amdhsa_system_sgpr_workgroup_id_z 0
		.amdhsa_system_sgpr_workgroup_info 0
		.amdhsa_system_vgpr_workitem_id 0
		.amdhsa_next_free_vgpr 22
		.amdhsa_next_free_sgpr 73
		.amdhsa_accum_offset 24
		.amdhsa_reserve_vcc 1
		.amdhsa_float_round_mode_32 0
		.amdhsa_float_round_mode_16_64 0
		.amdhsa_float_denorm_mode_32 3
		.amdhsa_float_denorm_mode_16_64 3
		.amdhsa_dx10_clamp 1
		.amdhsa_ieee_mode 1
		.amdhsa_fp16_overflow 0
		.amdhsa_tg_split 0
		.amdhsa_exception_fp_ieee_invalid_op 0
		.amdhsa_exception_fp_denorm_src 0
		.amdhsa_exception_fp_ieee_div_zero 0
		.amdhsa_exception_fp_ieee_overflow 0
		.amdhsa_exception_fp_ieee_underflow 0
		.amdhsa_exception_fp_ieee_inexact 0
		.amdhsa_exception_int_div_zero 0
	.end_amdhsa_kernel
	.section	.text._ZN2at6native12_GLOBAL__N_135_unfold_backward_elementwise_kernelILi256ELi4EZNS1_32_unfold_backward_internal_kernelIN3c107complexIdEEEEvRNS_14TensorIteratorEllllllEUliE_EEviT1_,"axG",@progbits,_ZN2at6native12_GLOBAL__N_135_unfold_backward_elementwise_kernelILi256ELi4EZNS1_32_unfold_backward_internal_kernelIN3c107complexIdEEEEvRNS_14TensorIteratorEllllllEUliE_EEviT1_,comdat
.Lfunc_end7:
	.size	_ZN2at6native12_GLOBAL__N_135_unfold_backward_elementwise_kernelILi256ELi4EZNS1_32_unfold_backward_internal_kernelIN3c107complexIdEEEEvRNS_14TensorIteratorEllllllEUliE_EEviT1_, .Lfunc_end7-_ZN2at6native12_GLOBAL__N_135_unfold_backward_elementwise_kernelILi256ELi4EZNS1_32_unfold_backward_internal_kernelIN3c107complexIdEEEEvRNS_14TensorIteratorEllllllEUliE_EEviT1_
                                        ; -- End function
	.set _ZN2at6native12_GLOBAL__N_135_unfold_backward_elementwise_kernelILi256ELi4EZNS1_32_unfold_backward_internal_kernelIN3c107complexIdEEEEvRNS_14TensorIteratorEllllllEUliE_EEviT1_.num_vgpr, 22
	.set _ZN2at6native12_GLOBAL__N_135_unfold_backward_elementwise_kernelILi256ELi4EZNS1_32_unfold_backward_internal_kernelIN3c107complexIdEEEEvRNS_14TensorIteratorEllllllEUliE_EEviT1_.num_agpr, 0
	.set _ZN2at6native12_GLOBAL__N_135_unfold_backward_elementwise_kernelILi256ELi4EZNS1_32_unfold_backward_internal_kernelIN3c107complexIdEEEEvRNS_14TensorIteratorEllllllEUliE_EEviT1_.numbered_sgpr, 73
	.set _ZN2at6native12_GLOBAL__N_135_unfold_backward_elementwise_kernelILi256ELi4EZNS1_32_unfold_backward_internal_kernelIN3c107complexIdEEEEvRNS_14TensorIteratorEllllllEUliE_EEviT1_.num_named_barrier, 0
	.set _ZN2at6native12_GLOBAL__N_135_unfold_backward_elementwise_kernelILi256ELi4EZNS1_32_unfold_backward_internal_kernelIN3c107complexIdEEEEvRNS_14TensorIteratorEllllllEUliE_EEviT1_.private_seg_size, 0
	.set _ZN2at6native12_GLOBAL__N_135_unfold_backward_elementwise_kernelILi256ELi4EZNS1_32_unfold_backward_internal_kernelIN3c107complexIdEEEEvRNS_14TensorIteratorEllllllEUliE_EEviT1_.uses_vcc, 1
	.set _ZN2at6native12_GLOBAL__N_135_unfold_backward_elementwise_kernelILi256ELi4EZNS1_32_unfold_backward_internal_kernelIN3c107complexIdEEEEvRNS_14TensorIteratorEllllllEUliE_EEviT1_.uses_flat_scratch, 0
	.set _ZN2at6native12_GLOBAL__N_135_unfold_backward_elementwise_kernelILi256ELi4EZNS1_32_unfold_backward_internal_kernelIN3c107complexIdEEEEvRNS_14TensorIteratorEllllllEUliE_EEviT1_.has_dyn_sized_stack, 0
	.set _ZN2at6native12_GLOBAL__N_135_unfold_backward_elementwise_kernelILi256ELi4EZNS1_32_unfold_backward_internal_kernelIN3c107complexIdEEEEvRNS_14TensorIteratorEllllllEUliE_EEviT1_.has_recursion, 0
	.set _ZN2at6native12_GLOBAL__N_135_unfold_backward_elementwise_kernelILi256ELi4EZNS1_32_unfold_backward_internal_kernelIN3c107complexIdEEEEvRNS_14TensorIteratorEllllllEUliE_EEviT1_.has_indirect_call, 0
	.section	.AMDGPU.csdata,"",@progbits
; Kernel info:
; codeLenInByte = 11124
; TotalNumSgprs: 79
; NumVgprs: 22
; NumAgprs: 0
; TotalNumVgprs: 22
; ScratchSize: 0
; MemoryBound: 0
; FloatMode: 240
; IeeeMode: 1
; LDSByteSize: 0 bytes/workgroup (compile time only)
; SGPRBlocks: 9
; VGPRBlocks: 2
; NumSGPRsForWavesPerEU: 79
; NumVGPRsForWavesPerEU: 22
; AccumOffset: 24
; Occupancy: 8
; WaveLimiterHint : 1
; COMPUTE_PGM_RSRC2:SCRATCH_EN: 0
; COMPUTE_PGM_RSRC2:USER_SGPR: 2
; COMPUTE_PGM_RSRC2:TRAP_HANDLER: 0
; COMPUTE_PGM_RSRC2:TGID_X_EN: 1
; COMPUTE_PGM_RSRC2:TGID_Y_EN: 0
; COMPUTE_PGM_RSRC2:TGID_Z_EN: 0
; COMPUTE_PGM_RSRC2:TIDIG_COMP_CNT: 0
; COMPUTE_PGM_RSRC3_GFX90A:ACCUM_OFFSET: 5
; COMPUTE_PGM_RSRC3_GFX90A:TG_SPLIT: 0
	.section	.text._ZN2at6native12_GLOBAL__N_135_unfold_backward_elementwise_kernelILi256ELi4EZNS1_32_unfold_backward_internal_kernelIN3c107complexIfEEEEvRNS_14TensorIteratorEllllllEUliE_EEviT1_,"axG",@progbits,_ZN2at6native12_GLOBAL__N_135_unfold_backward_elementwise_kernelILi256ELi4EZNS1_32_unfold_backward_internal_kernelIN3c107complexIfEEEEvRNS_14TensorIteratorEllllllEUliE_EEviT1_,comdat
	.globl	_ZN2at6native12_GLOBAL__N_135_unfold_backward_elementwise_kernelILi256ELi4EZNS1_32_unfold_backward_internal_kernelIN3c107complexIfEEEEvRNS_14TensorIteratorEllllllEUliE_EEviT1_ ; -- Begin function _ZN2at6native12_GLOBAL__N_135_unfold_backward_elementwise_kernelILi256ELi4EZNS1_32_unfold_backward_internal_kernelIN3c107complexIfEEEEvRNS_14TensorIteratorEllllllEUliE_EEviT1_
	.p2align	8
	.type	_ZN2at6native12_GLOBAL__N_135_unfold_backward_elementwise_kernelILi256ELi4EZNS1_32_unfold_backward_internal_kernelIN3c107complexIfEEEEvRNS_14TensorIteratorEllllllEUliE_EEviT1_,@function
_ZN2at6native12_GLOBAL__N_135_unfold_backward_elementwise_kernelILi256ELi4EZNS1_32_unfold_backward_internal_kernelIN3c107complexIfEEEEvRNS_14TensorIteratorEllllllEUliE_EEviT1_: ; @_ZN2at6native12_GLOBAL__N_135_unfold_backward_elementwise_kernelILi256ELi4EZNS1_32_unfold_backward_internal_kernelIN3c107complexIfEEEEvRNS_14TensorIteratorEllllllEUliE_EEviT1_
; %bb.0:
	s_load_dword s70, s[0:1], 0x0
	s_load_dwordx8 s[20:27], s[0:1], 0x8
	v_lshl_or_b32 v14, s2, 10, v0
	s_waitcnt lgkmcnt(0)
	s_add_u32 s27, s0, 8
	s_load_dwordx16 s[4:19], s[0:1], 0x190
	s_load_dwordx4 s[28:31], s[0:1], 0xcc
	s_load_dwordx2 s[34:35], s[0:1], 0xdc
	s_addc_u32 s33, s1, 0
	v_sub_co_u32_e64 v0, s[2:3], s20, 1
	s_nop 0
	v_readfirstlane_b32 s68, v0
	s_xor_b64 s[64:65], s[2:3], -1
	s_or_b32 s62, s0, 12
	s_min_u32 s69, s68, 15
	s_mov_b32 s63, s1
	s_cmp_gt_u32 s20, 1
	v_cmp_lt_u32_e64 s[0:1], 1, v0
	s_cselect_b64 s[60:61], -1, 0
	s_waitcnt lgkmcnt(0)
	s_add_u32 s14, s14, -1
	v_cndmask_b32_e64 v0, 0, 1, s[0:1]
	s_mov_b64 s[2:3], -1
	s_addc_u32 s15, s15, -1
	v_cmp_gt_i32_e32 vcc, s70, v14
	v_cmp_ne_u32_e64 s[0:1], 1, v0
	s_and_saveexec_b64 s[66:67], vcc
	s_cbranch_execnz .LBB8_4
; %bb.1:
	s_or_b64 exec, exec, s[66:67]
	v_cmp_gt_i32_e32 vcc, s70, v14
	s_and_saveexec_b64 s[66:67], vcc
	s_cbranch_execnz .LBB8_31
.LBB8_2:
	s_or_b64 exec, exec, s[66:67]
	v_cmp_gt_i32_e32 vcc, s70, v14
	s_and_saveexec_b64 s[66:67], vcc
	s_cbranch_execnz .LBB8_58
.LBB8_3:
	s_or_b64 exec, exec, s[66:67]
	v_cmp_gt_i32_e32 vcc, s70, v14
	s_and_saveexec_b64 s[2:3], vcc
	s_cbranch_execnz .LBB8_85
	s_branch .LBB8_111
.LBB8_4:
	s_and_b64 vcc, exec, s[0:1]
                                        ; implicit-def: $vgpr4
                                        ; implicit-def: $vgpr0
                                        ; implicit-def: $vgpr2
	s_cbranch_vccnz .LBB8_14
; %bb.5:
	v_mov_b32_e32 v4, 0
	s_andn2_b64 vcc, exec, s[64:65]
	v_mov_b32_e32 v0, 0
	v_mov_b32_e32 v2, 0
	s_cbranch_vccnz .LBB8_13
; %bb.6:
	s_add_i32 s71, s69, 1
	s_cmp_eq_u32 s68, 2
	s_cbranch_scc1 .LBB8_10
; %bb.7:
	s_and_b32 s20, s71, 28
	v_mov_b32_e32 v2, 0
	s_mov_b32 s72, 0
	s_mov_b64 s[2:3], s[62:63]
	v_mov_b32_e32 v6, v14
	v_mov_b32_e32 v0, 0
	v_mov_b32_e32 v4, 0
.LBB8_8:                                ; =>This Inner Loop Header: Depth=1
	s_load_dwordx8 s[36:43], s[2:3], 0x0
	s_load_dwordx4 s[52:55], s[2:3], 0x20
	s_load_dwordx4 s[56:59], s[2:3], 0xe0
	s_load_dwordx8 s[44:51], s[2:3], 0xc0
	s_add_i32 s72, s72, 4
	s_waitcnt lgkmcnt(0)
	v_mul_hi_u32 v1, s37, v6
	v_add_u32_e32 v1, v6, v1
	v_lshrrev_b32_e32 v1, s38, v1
	v_mul_hi_u32 v5, s40, v1
	v_add_u32_e32 v5, v1, v5
	v_lshrrev_b32_e32 v5, s41, v5
	v_mul_lo_u32 v3, v1, s36
	v_mul_lo_u32 v8, v5, s39
	v_mul_hi_u32 v9, s43, v5
	v_sub_u32_e32 v3, v6, v3
	v_sub_u32_e32 v1, v1, v8
	v_add_u32_e32 v8, v5, v9
	v_mul_lo_u32 v6, v3, s44
	v_mul_lo_u32 v7, v3, s46
	;; [unrolled: 1-line block ×6, first 2 shown]
	v_lshrrev_b32_e32 v8, s52, v8
	v_add3_u32 v0, v3, v0, v1
	v_add3_u32 v1, v7, v4, v10
	v_mul_hi_u32 v4, s54, v8
	v_add_u32_e32 v4, v8, v4
	v_add3_u32 v2, v6, v2, v9
	v_lshrrev_b32_e32 v6, s55, v4
	v_mul_lo_u32 v3, v8, s42
	v_mul_lo_u32 v4, v6, s53
	s_add_u32 s2, s2, 48
	v_sub_u32_e32 v3, v5, v3
	v_sub_u32_e32 v4, v8, v4
	s_addc_u32 s3, s3, 0
	v_mul_lo_u32 v5, v3, s50
	v_mul_lo_u32 v7, v3, s51
	;; [unrolled: 1-line block ×6, first 2 shown]
	s_cmp_lg_u32 s20, s72
	v_add3_u32 v2, v5, v2, v8
	v_add3_u32 v4, v3, v1, v4
	;; [unrolled: 1-line block ×3, first 2 shown]
	s_cbranch_scc1 .LBB8_8
; %bb.9:
	v_mov_b32_e32 v1, v4
	s_and_b32 s36, s71, 3
	s_cmp_eq_u32 s36, 0
	s_cbranch_scc0 .LBB8_11
	s_branch .LBB8_13
.LBB8_10:
	v_mov_b32_e32 v0, 0
	s_mov_b32 s20, 0
	v_mov_b32_e32 v1, v0
                                        ; implicit-def: $vgpr4
	v_mov_b32_e32 v6, v14
	v_mov_b32_e32 v2, v0
	s_and_b32 s36, s71, 3
	s_cmp_eq_u32 s36, 0
	s_cbranch_scc1 .LBB8_13
.LBB8_11:
	s_mul_i32 s2, s20, 12
	s_add_u32 s2, s27, s2
	s_addc_u32 s3, s33, 0
	s_add_u32 s2, s2, 4
	s_addc_u32 s3, s3, 0
.LBB8_12:                               ; =>This Inner Loop Header: Depth=1
	s_load_dwordx2 s[38:39], s[2:3], 0x0
	s_load_dword s20, s[2:3], 0x8
	s_load_dwordx2 s[40:41], s[2:3], 0xc0
	s_load_dword s37, s[2:3], 0xc8
	v_mov_b32_e32 v4, v1
	s_waitcnt lgkmcnt(0)
	v_mul_hi_u32 v1, s39, v6
	v_add_u32_e32 v1, v6, v1
	v_lshrrev_b32_e32 v1, s20, v1
	v_mul_lo_u32 v3, v1, s38
	s_add_u32 s2, s2, 12
	v_sub_u32_e32 v7, v6, v3
	s_addc_u32 s3, s3, 0
	s_add_i32 s36, s36, -1
	v_mov_b32_e32 v6, v1
	v_mad_u64_u32 v[4:5], s[38:39], v7, s37, v[4:5]
	v_mad_u64_u32 v[0:1], s[38:39], v7, s41, v[0:1]
	s_cmp_lg_u32 s36, 0
	v_mad_u64_u32 v[2:3], s[38:39], v7, s40, v[2:3]
	v_mov_b32_e32 v1, v4
	s_cbranch_scc1 .LBB8_12
.LBB8_13:
	s_mov_b64 s[2:3], 0
.LBB8_14:
	s_andn2_b64 vcc, exec, s[2:3]
	s_cbranch_vccnz .LBB8_17
; %bb.15:
	v_mul_hi_u32 v0, s22, v14
	v_add_u32_e32 v0, v14, v0
	v_lshrrev_b32_e32 v1, s23, v0
	v_mul_lo_u32 v0, v1, s21
	v_sub_u32_e32 v0, v14, v0
	v_mul_lo_u32 v2, v0, s28
	v_mul_lo_u32 v4, v0, s30
	s_andn2_b64 vcc, exec, s[60:61]
	v_mul_lo_u32 v0, v0, s29
	s_cbranch_vccnz .LBB8_17
; %bb.16:
	v_mul_hi_u32 v3, s25, v1
	v_add_u32_e32 v3, v1, v3
	v_lshrrev_b32_e32 v3, s26, v3
	v_mul_lo_u32 v3, v3, s24
	v_sub_u32_e32 v5, v1, v3
	v_mad_u64_u32 v[2:3], s[2:3], v5, s31, v[2:3]
	v_mad_u64_u32 v[0:1], s[2:3], v5, s34, v[0:1]
	;; [unrolled: 1-line block ×3, first 2 shown]
.LBB8_17:
	global_load_dwordx2 v[4:5], v4, s[8:9]
	v_mov_b64_e32 v[6:7], 0
	s_waitcnt vmcnt(0)
	v_cmp_lt_i64_e32 vcc, s[10:11], v[4:5]
	s_and_saveexec_b64 s[36:37], vcc
	s_cbranch_execz .LBB8_23
; %bb.18:
	v_mov_b32_e32 v1, s11
	v_subrev_co_u32_e32 v8, vcc, s10, v4
	v_mov_b32_e32 v10, 0
	s_nop 0
	v_subb_co_u32_e32 v9, vcc, v5, v1, vcc
	v_or_b32_e32 v11, s13, v9
	v_cmp_ne_u64_e32 vcc, 0, v[10:11]
                                        ; implicit-def: $vgpr6_vgpr7
	s_and_saveexec_b64 s[2:3], vcc
	s_xor_b64 s[38:39], exec, s[2:3]
	s_cbranch_execz .LBB8_20
; %bb.19:
	s_ashr_i32 s40, s13, 31
	s_add_u32 s2, s12, s40
	s_mov_b32 s41, s40
	s_addc_u32 s3, s13, s40
	s_xor_b64 s[42:43], s[2:3], s[40:41]
	v_cvt_f32_u32_e32 v1, s42
	v_cvt_f32_u32_e32 v3, s43
	s_sub_u32 s20, 0, s42
	s_subb_u32 s41, 0, s43
	v_ashrrev_i32_e32 v6, 31, v9
	v_fmamk_f32 v1, v3, 0x4f800000, v1
	v_rcp_f32_e32 v1, v1
	v_mov_b32_e32 v7, v6
	v_lshl_add_u64 v[8:9], v[8:9], 0, v[6:7]
	v_mov_b32_e32 v13, v10
	v_mul_f32_e32 v1, 0x5f7ffffc, v1
	v_mul_f32_e32 v3, 0x2f800000, v1
	v_trunc_f32_e32 v3, v3
	v_fmamk_f32 v1, v3, 0xcf800000, v1
	v_cvt_u32_f32_e32 v3, v3
	v_cvt_u32_f32_e32 v1, v1
	v_readfirstlane_b32 s44, v3
	v_readfirstlane_b32 s2, v1
	s_mul_i32 s3, s20, s44
	s_mul_hi_u32 s46, s20, s2
	s_mul_i32 s45, s41, s2
	s_add_i32 s3, s46, s3
	s_add_i32 s3, s3, s45
	s_mul_i32 s47, s20, s2
	s_mul_i32 s46, s2, s3
	s_mul_hi_u32 s48, s2, s47
	s_mul_hi_u32 s45, s2, s3
	s_add_u32 s46, s48, s46
	s_addc_u32 s45, 0, s45
	s_mul_hi_u32 s49, s44, s47
	s_mul_i32 s47, s44, s47
	s_add_u32 s46, s46, s47
	s_mul_hi_u32 s48, s44, s3
	s_addc_u32 s45, s45, s49
	s_addc_u32 s46, s48, 0
	s_mul_i32 s3, s44, s3
	s_add_u32 s3, s45, s3
	s_addc_u32 s45, 0, s46
	s_add_u32 s46, s2, s3
	s_cselect_b64 s[2:3], -1, 0
	s_cmp_lg_u64 s[2:3], 0
	s_addc_u32 s44, s44, s45
	s_mul_i32 s2, s20, s44
	s_mul_hi_u32 s3, s20, s46
	s_add_i32 s2, s3, s2
	s_mul_i32 s41, s41, s46
	s_add_i32 s2, s2, s41
	s_mul_i32 s20, s20, s46
	s_mul_hi_u32 s41, s44, s20
	s_mul_i32 s45, s44, s20
	s_mul_i32 s48, s46, s2
	s_mul_hi_u32 s20, s46, s20
	s_mul_hi_u32 s47, s46, s2
	s_add_u32 s20, s20, s48
	s_addc_u32 s47, 0, s47
	s_add_u32 s20, s20, s45
	s_mul_hi_u32 s3, s44, s2
	s_addc_u32 s20, s47, s41
	s_addc_u32 s3, s3, 0
	s_mul_i32 s2, s44, s2
	s_add_u32 s2, s20, s2
	s_addc_u32 s20, 0, s3
	s_add_u32 s41, s46, s2
	s_cselect_b64 s[2:3], -1, 0
	s_cmp_lg_u64 s[2:3], 0
	s_addc_u32 s20, s44, s20
	v_xor_b32_e32 v3, v8, v6
	v_xor_b32_e32 v1, v9, v6
	v_mad_u64_u32 v[8:9], s[2:3], v3, s20, 0
	v_mul_hi_u32 v12, v3, s41
	v_lshl_add_u64 v[8:9], v[12:13], 0, v[8:9]
	v_mad_u64_u32 v[16:17], s[2:3], v1, s41, 0
	v_add_co_u32_e32 v7, vcc, v8, v16
	v_mad_u64_u32 v[12:13], s[2:3], v1, s20, 0
	s_nop 0
	v_addc_co_u32_e32 v8, vcc, v9, v17, vcc
	v_mov_b32_e32 v9, v10
	s_nop 0
	v_addc_co_u32_e32 v13, vcc, 0, v13, vcc
	v_lshl_add_u64 v[8:9], v[8:9], 0, v[12:13]
	v_mul_lo_u32 v7, s43, v8
	v_mul_lo_u32 v12, s42, v9
	v_mad_u64_u32 v[10:11], s[2:3], s42, v8, 0
	v_add3_u32 v7, v11, v12, v7
	v_sub_u32_e32 v11, v1, v7
	v_mov_b32_e32 v12, s43
	v_sub_co_u32_e32 v3, vcc, v3, v10
	s_nop 1
	v_subb_co_u32_e64 v10, s[2:3], v11, v12, vcc
	v_subrev_co_u32_e64 v11, s[2:3], s42, v3
	v_subb_co_u32_e32 v1, vcc, v1, v7, vcc
	s_nop 0
	v_subbrev_co_u32_e64 v10, s[2:3], 0, v10, s[2:3]
	v_cmp_le_u32_e64 s[2:3], s43, v10
	v_cmp_le_u32_e32 vcc, s43, v1
	s_nop 0
	v_cndmask_b32_e64 v12, 0, -1, s[2:3]
	v_cmp_le_u32_e64 s[2:3], s42, v11
	v_cndmask_b32_e64 v7, 0, -1, vcc
	v_cmp_le_u32_e32 vcc, s42, v3
	v_cndmask_b32_e64 v11, 0, -1, s[2:3]
	v_cmp_eq_u32_e64 s[2:3], s43, v10
	v_cndmask_b32_e64 v3, 0, -1, vcc
	v_cmp_eq_u32_e32 vcc, s43, v1
	v_cndmask_b32_e64 v15, v12, v11, s[2:3]
	v_lshl_add_u64 v[10:11], v[8:9], 0, 2
	v_lshl_add_u64 v[12:13], v[8:9], 0, 1
	v_cmp_ne_u32_e64 s[2:3], 0, v15
	v_cndmask_b32_e32 v1, v7, v3, vcc
	v_cmp_ne_u32_e32 vcc, 0, v1
	v_cndmask_b32_e64 v3, v12, v10, s[2:3]
	v_cndmask_b32_e64 v11, v13, v11, s[2:3]
	v_cndmask_b32_e32 v3, v8, v3, vcc
	v_xor_b32_e32 v7, s40, v6
	v_cndmask_b32_e32 v1, v9, v11, vcc
	v_xor_b32_e32 v3, v3, v7
	v_xor_b32_e32 v1, v1, v7
	v_sub_co_u32_e32 v6, vcc, v3, v7
                                        ; implicit-def: $vgpr8
	s_nop 1
	v_subb_co_u32_e32 v7, vcc, v1, v7, vcc
.LBB8_20:
	s_andn2_saveexec_b64 s[2:3], s[38:39]
	s_cbranch_execz .LBB8_22
; %bb.21:
	v_cvt_f32_u32_e32 v1, s12
	s_sub_i32 s20, 0, s12
	v_rcp_iflag_f32_e32 v1, v1
	s_nop 0
	v_mul_f32_e32 v1, 0x4f7ffffe, v1
	v_cvt_u32_f32_e32 v1, v1
	v_mul_lo_u32 v3, s20, v1
	v_mul_hi_u32 v3, v1, v3
	v_add_u32_e32 v1, v1, v3
	v_mul_hi_u32 v1, v8, v1
	v_mul_lo_u32 v3, v1, s12
	v_sub_u32_e32 v3, v8, v3
	v_add_u32_e32 v6, 1, v1
	v_subrev_u32_e32 v7, s12, v3
	v_cmp_le_u32_e32 vcc, s12, v3
	s_nop 1
	v_cndmask_b32_e32 v3, v3, v7, vcc
	v_cndmask_b32_e32 v1, v1, v6, vcc
	v_add_u32_e32 v6, 1, v1
	v_cmp_le_u32_e32 vcc, s12, v3
	v_mov_b32_e32 v7, 0
	s_nop 0
	v_cndmask_b32_e32 v6, v1, v6, vcc
.LBB8_22:
	s_or_b64 exec, exec, s[2:3]
.LBB8_23:
	s_or_b64 exec, exec, s[36:37]
	v_or_b32_e32 v9, s13, v5
	v_mov_b32_e32 v8, 0
	v_cmp_ne_u64_e32 vcc, 0, v[8:9]
                                        ; implicit-def: $vgpr10_vgpr11
	s_and_saveexec_b64 s[2:3], vcc
	s_xor_b64 s[36:37], exec, s[2:3]
	s_cbranch_execz .LBB8_25
; %bb.24:
	s_ashr_i32 s38, s13, 31
	s_add_u32 s2, s12, s38
	s_mov_b32 s39, s38
	s_addc_u32 s3, s13, s38
	s_xor_b64 s[40:41], s[2:3], s[38:39]
	v_cvt_f32_u32_e32 v1, s40
	v_cvt_f32_u32_e32 v3, s41
	s_sub_u32 s20, 0, s40
	s_subb_u32 s39, 0, s41
	v_ashrrev_i32_e32 v10, 31, v5
	v_fmamk_f32 v1, v3, 0x4f800000, v1
	v_rcp_f32_e32 v1, v1
	v_mov_b32_e32 v11, v10
	v_lshl_add_u64 v[12:13], v[4:5], 0, v[10:11]
	v_mov_b32_e32 v17, v8
	v_mul_f32_e32 v1, 0x5f7ffffc, v1
	v_mul_f32_e32 v3, 0x2f800000, v1
	v_trunc_f32_e32 v3, v3
	v_fmamk_f32 v1, v3, 0xcf800000, v1
	v_cvt_u32_f32_e32 v3, v3
	v_cvt_u32_f32_e32 v1, v1
	v_readfirstlane_b32 s42, v3
	v_readfirstlane_b32 s2, v1
	s_mul_i32 s3, s20, s42
	s_mul_hi_u32 s44, s20, s2
	s_mul_i32 s43, s39, s2
	s_add_i32 s3, s44, s3
	s_add_i32 s3, s3, s43
	s_mul_i32 s45, s20, s2
	s_mul_i32 s44, s2, s3
	s_mul_hi_u32 s46, s2, s45
	s_mul_hi_u32 s43, s2, s3
	s_add_u32 s44, s46, s44
	s_addc_u32 s43, 0, s43
	s_mul_hi_u32 s47, s42, s45
	s_mul_i32 s45, s42, s45
	s_add_u32 s44, s44, s45
	s_mul_hi_u32 s46, s42, s3
	s_addc_u32 s43, s43, s47
	s_addc_u32 s44, s46, 0
	s_mul_i32 s3, s42, s3
	s_add_u32 s3, s43, s3
	s_addc_u32 s43, 0, s44
	s_add_u32 s44, s2, s3
	s_cselect_b64 s[2:3], -1, 0
	s_cmp_lg_u64 s[2:3], 0
	s_addc_u32 s42, s42, s43
	s_mul_i32 s2, s20, s42
	s_mul_hi_u32 s3, s20, s44
	s_add_i32 s2, s3, s2
	s_mul_i32 s39, s39, s44
	s_add_i32 s2, s2, s39
	s_mul_i32 s20, s20, s44
	s_mul_hi_u32 s39, s42, s20
	s_mul_i32 s43, s42, s20
	s_mul_i32 s46, s44, s2
	s_mul_hi_u32 s20, s44, s20
	s_mul_hi_u32 s45, s44, s2
	s_add_u32 s20, s20, s46
	s_addc_u32 s45, 0, s45
	s_add_u32 s20, s20, s43
	s_mul_hi_u32 s3, s42, s2
	s_addc_u32 s20, s45, s39
	s_addc_u32 s3, s3, 0
	s_mul_i32 s2, s42, s2
	s_add_u32 s2, s20, s2
	s_addc_u32 s20, 0, s3
	s_add_u32 s39, s44, s2
	s_cselect_b64 s[2:3], -1, 0
	s_cmp_lg_u64 s[2:3], 0
	s_addc_u32 s20, s42, s20
	v_xor_b32_e32 v3, v12, v10
	v_xor_b32_e32 v1, v13, v10
	v_mad_u64_u32 v[12:13], s[2:3], v3, s20, 0
	v_mul_hi_u32 v16, v3, s39
	v_lshl_add_u64 v[12:13], v[16:17], 0, v[12:13]
	v_mad_u64_u32 v[18:19], s[2:3], v1, s39, 0
	v_add_co_u32_e32 v9, vcc, v12, v18
	v_mad_u64_u32 v[16:17], s[2:3], v1, s20, 0
	s_nop 0
	v_addc_co_u32_e32 v12, vcc, v13, v19, vcc
	v_mov_b32_e32 v13, v8
	s_nop 0
	v_addc_co_u32_e32 v17, vcc, 0, v17, vcc
	v_lshl_add_u64 v[8:9], v[12:13], 0, v[16:17]
	v_mul_lo_u32 v11, s41, v8
	v_mul_lo_u32 v15, s40, v9
	v_mad_u64_u32 v[12:13], s[2:3], s40, v8, 0
	v_add3_u32 v11, v13, v15, v11
	v_sub_u32_e32 v13, v1, v11
	v_mov_b32_e32 v15, s41
	v_sub_co_u32_e32 v3, vcc, v3, v12
	v_lshl_add_u64 v[16:17], v[8:9], 0, 1
	s_nop 0
	v_subb_co_u32_e64 v12, s[2:3], v13, v15, vcc
	v_subrev_co_u32_e64 v13, s[2:3], s40, v3
	v_subb_co_u32_e32 v1, vcc, v1, v11, vcc
	s_nop 0
	v_subbrev_co_u32_e64 v12, s[2:3], 0, v12, s[2:3]
	v_cmp_le_u32_e64 s[2:3], s41, v12
	v_cmp_le_u32_e32 vcc, s41, v1
	s_nop 0
	v_cndmask_b32_e64 v15, 0, -1, s[2:3]
	v_cmp_le_u32_e64 s[2:3], s40, v13
	v_cndmask_b32_e64 v11, 0, -1, vcc
	v_cmp_le_u32_e32 vcc, s40, v3
	v_cndmask_b32_e64 v13, 0, -1, s[2:3]
	v_cmp_eq_u32_e64 s[2:3], s41, v12
	v_cndmask_b32_e64 v3, 0, -1, vcc
	v_cmp_eq_u32_e32 vcc, s41, v1
	v_cndmask_b32_e64 v15, v15, v13, s[2:3]
	v_lshl_add_u64 v[12:13], v[8:9], 0, 2
	v_cmp_ne_u32_e64 s[2:3], 0, v15
	v_cndmask_b32_e32 v1, v11, v3, vcc
	v_cmp_ne_u32_e32 vcc, 0, v1
	v_cndmask_b32_e64 v3, v16, v12, s[2:3]
	v_cndmask_b32_e64 v13, v17, v13, s[2:3]
	v_cndmask_b32_e32 v3, v8, v3, vcc
	v_xor_b32_e32 v8, s38, v10
	v_cndmask_b32_e32 v1, v9, v13, vcc
	v_xor_b32_e32 v3, v3, v8
	v_xor_b32_e32 v1, v1, v8
	v_sub_co_u32_e32 v10, vcc, v3, v8
	s_nop 1
	v_subb_co_u32_e32 v11, vcc, v1, v8, vcc
.LBB8_25:
	s_andn2_saveexec_b64 s[2:3], s[36:37]
	s_cbranch_execz .LBB8_27
; %bb.26:
	v_cvt_f32_u32_e32 v1, s12
	s_sub_i32 s20, 0, s12
	v_mov_b32_e32 v11, 0
	v_rcp_iflag_f32_e32 v1, v1
	s_nop 0
	v_mul_f32_e32 v1, 0x4f7ffffe, v1
	v_cvt_u32_f32_e32 v1, v1
	v_mul_lo_u32 v3, s20, v1
	v_mul_hi_u32 v3, v1, v3
	v_add_u32_e32 v1, v1, v3
	v_mul_hi_u32 v1, v4, v1
	v_mul_lo_u32 v3, v1, s12
	v_sub_u32_e32 v3, v4, v3
	v_add_u32_e32 v8, 1, v1
	v_subrev_u32_e32 v9, s12, v3
	v_cmp_le_u32_e32 vcc, s12, v3
	s_nop 1
	v_cndmask_b32_e32 v3, v3, v9, vcc
	v_cndmask_b32_e32 v1, v1, v8, vcc
	v_add_u32_e32 v8, 1, v1
	v_cmp_le_u32_e32 vcc, s12, v3
	s_nop 1
	v_cndmask_b32_e32 v10, v1, v8, vcc
.LBB8_27:
	s_or_b64 exec, exec, s[2:3]
	v_mul_lo_u32 v1, v7, s12
	v_mul_lo_u32 v3, v6, s13
	v_mad_u64_u32 v[8:9], s[2:3], v6, s12, 0
	v_add3_u32 v9, v9, v3, v1
	v_cmp_gt_i64_e32 vcc, v[8:9], v[4:5]
	v_mov_b64_e32 v[8:9], s[10:11]
	v_mad_u64_u32 v[8:9], s[2:3], v6, s12, v[8:9]
	v_add3_u32 v9, v1, v9, v3
	v_cmp_ge_i64_e64 s[2:3], v[4:5], v[8:9]
	s_or_b64 s[2:3], vcc, s[2:3]
	v_mov_b32_e32 v1, s15
	v_cndmask_b32_e64 v8, 0, 1, s[2:3]
	s_mov_b32 s2, 0
	v_mov_b32_e32 v9, s2
	v_cmp_gt_i64_e32 vcc, s[14:15], v[10:11]
	v_lshl_add_u64 v[12:13], v[6:7], 0, v[8:9]
	s_nop 0
	v_cndmask_b32_e32 v7, v1, v11, vcc
	v_mov_b32_e32 v1, s14
	v_cndmask_b32_e32 v6, v1, v10, vcc
	v_cmp_le_i64_e32 vcc, v[12:13], v[6:7]
	s_and_saveexec_b64 s[2:3], vcc
	s_cbranch_execz .LBB8_30
; %bb.28:
	global_load_dwordx2 v[8:9], v2, s[4:5]
	v_mul_lo_u32 v15, s13, v12
	v_mul_lo_u32 v18, s12, v13
	v_mad_u64_u32 v[16:17], s[36:37], s12, v12, 0
	v_add3_u32 v15, v17, v18, v15
	v_sub_co_u32_e32 v4, vcc, v4, v16
	v_mov_b32_e32 v3, 0
	s_nop 0
	v_subb_co_u32_e32 v5, vcc, v5, v15, vcc
	v_mul_lo_u32 v15, s19, v4
	v_mul_lo_u32 v16, s18, v5
	v_mad_u64_u32 v[4:5], s[36:37], s18, v4, 0
	v_lshl_add_u64 v[10:11], s[4:5], 0, v[2:3]
	v_mov_b32_e32 v1, v3
	v_lshl_add_u64 v[2:3], v[12:13], 0, -1
	v_add3_u32 v5, v5, v16, v15
	v_mul_lo_u32 v15, s17, v12
	v_mul_lo_u32 v16, s16, v13
	v_mad_u64_u32 v[12:13], s[36:37], s16, v12, 0
	s_mul_i32 s20, s12, s19
	s_mul_hi_u32 s38, s12, s18
	v_add3_u32 v13, v13, v16, v15
	s_add_i32 s20, s38, s20
	s_mul_i32 s38, s13, s18
	v_lshlrev_b64 v[12:13], 3, v[12:13]
	s_add_i32 s39, s20, s38
	s_mul_i32 s38, s12, s18
	v_lshl_add_u64 v[4:5], v[4:5], 3, v[12:13]
	s_lshl_b64 s[36:37], s[16:17], 3
	s_lshl_b64 s[38:39], s[38:39], 3
	v_lshl_add_u64 v[0:1], v[4:5], 0, v[0:1]
	s_sub_u32 s36, s36, s38
	v_lshl_add_u64 v[0:1], s[6:7], 0, v[0:1]
	s_subb_u32 s37, s37, s39
	s_mov_b64 s[38:39], 0
.LBB8_29:                               ; =>This Inner Loop Header: Depth=1
	global_load_dwordx2 v[4:5], v[0:1], off
	v_lshl_add_u64 v[2:3], v[2:3], 0, 1
	v_cmp_ge_i64_e32 vcc, v[2:3], v[6:7]
	v_lshl_add_u64 v[0:1], v[0:1], 0, s[36:37]
	s_or_b64 s[38:39], vcc, s[38:39]
	s_waitcnt vmcnt(0)
	v_pk_add_f32 v[8:9], v[8:9], v[4:5]
	global_store_dwordx2 v[10:11], v[8:9], off
	s_andn2_b64 exec, exec, s[38:39]
	s_cbranch_execnz .LBB8_29
.LBB8_30:
	s_or_b64 exec, exec, s[2:3]
	v_add_u32_e32 v14, 0x100, v14
	s_or_b64 exec, exec, s[66:67]
	v_cmp_gt_i32_e32 vcc, s70, v14
	s_and_saveexec_b64 s[66:67], vcc
	s_cbranch_execz .LBB8_2
.LBB8_31:
	s_and_b64 vcc, exec, s[0:1]
	s_cbranch_vccnz .LBB8_37
; %bb.32:
	v_mov_b32_e32 v4, 0
	s_andn2_b64 vcc, exec, s[64:65]
	v_mov_b32_e32 v0, 0
	v_mov_b32_e32 v2, 0
	s_cbranch_vccnz .LBB8_41
; %bb.33:
	s_add_i32 s71, s69, 1
	s_cmp_eq_u32 s68, 2
	s_cbranch_scc1 .LBB8_38
; %bb.34:
	s_and_b32 s20, s71, 28
	v_mov_b32_e32 v2, 0
	s_mov_b32 s72, 0
	s_mov_b64 s[2:3], s[62:63]
	v_mov_b32_e32 v6, v14
	v_mov_b32_e32 v0, 0
	;; [unrolled: 1-line block ×3, first 2 shown]
.LBB8_35:                               ; =>This Inner Loop Header: Depth=1
	s_load_dwordx8 s[36:43], s[2:3], 0x0
	s_load_dwordx4 s[52:55], s[2:3], 0x20
	s_load_dwordx4 s[56:59], s[2:3], 0xe0
	s_load_dwordx8 s[44:51], s[2:3], 0xc0
	s_add_i32 s72, s72, 4
	s_waitcnt lgkmcnt(0)
	v_mul_hi_u32 v1, s37, v6
	v_add_u32_e32 v1, v6, v1
	v_lshrrev_b32_e32 v1, s38, v1
	v_mul_hi_u32 v5, s40, v1
	v_add_u32_e32 v5, v1, v5
	v_lshrrev_b32_e32 v5, s41, v5
	v_mul_lo_u32 v3, v1, s36
	v_mul_lo_u32 v8, v5, s39
	v_mul_hi_u32 v9, s43, v5
	v_sub_u32_e32 v3, v6, v3
	v_sub_u32_e32 v1, v1, v8
	v_add_u32_e32 v8, v5, v9
	v_mul_lo_u32 v6, v3, s44
	v_mul_lo_u32 v7, v3, s46
	;; [unrolled: 1-line block ×6, first 2 shown]
	v_lshrrev_b32_e32 v8, s52, v8
	v_add3_u32 v0, v3, v0, v1
	v_add3_u32 v1, v7, v4, v10
	v_mul_hi_u32 v4, s54, v8
	v_add_u32_e32 v4, v8, v4
	v_add3_u32 v2, v6, v2, v9
	v_lshrrev_b32_e32 v6, s55, v4
	v_mul_lo_u32 v3, v8, s42
	v_mul_lo_u32 v4, v6, s53
	s_add_u32 s2, s2, 48
	v_sub_u32_e32 v3, v5, v3
	v_sub_u32_e32 v4, v8, v4
	s_addc_u32 s3, s3, 0
	v_mul_lo_u32 v5, v3, s50
	v_mul_lo_u32 v7, v3, s51
	;; [unrolled: 1-line block ×6, first 2 shown]
	s_cmp_eq_u32 s20, s72
	v_add3_u32 v2, v5, v2, v8
	v_add3_u32 v4, v3, v1, v4
	;; [unrolled: 1-line block ×3, first 2 shown]
	s_cbranch_scc0 .LBB8_35
; %bb.36:
	v_mov_b32_e32 v1, v4
	s_and_b32 s36, s71, 3
	s_cmp_eq_u32 s36, 0
	s_cbranch_scc0 .LBB8_39
	s_branch .LBB8_41
.LBB8_37:
                                        ; implicit-def: $vgpr4
                                        ; implicit-def: $vgpr0
                                        ; implicit-def: $vgpr2
	s_branch .LBB8_42
.LBB8_38:
	v_mov_b32_e32 v0, 0
	s_mov_b32 s20, 0
	v_mov_b32_e32 v1, v0
                                        ; implicit-def: $vgpr4
	v_mov_b32_e32 v6, v14
	v_mov_b32_e32 v2, v0
	s_and_b32 s36, s71, 3
	s_cmp_eq_u32 s36, 0
	s_cbranch_scc1 .LBB8_41
.LBB8_39:
	s_mul_i32 s2, s20, 12
	s_add_u32 s2, s27, s2
	s_addc_u32 s3, s33, 0
	s_add_u32 s2, s2, 4
	s_addc_u32 s3, s3, 0
.LBB8_40:                               ; =>This Inner Loop Header: Depth=1
	s_load_dwordx2 s[38:39], s[2:3], 0x0
	s_load_dword s20, s[2:3], 0x8
	s_load_dwordx2 s[40:41], s[2:3], 0xc0
	s_load_dword s37, s[2:3], 0xc8
	v_mov_b32_e32 v4, v1
	s_waitcnt lgkmcnt(0)
	v_mul_hi_u32 v1, s39, v6
	v_add_u32_e32 v1, v6, v1
	v_lshrrev_b32_e32 v1, s20, v1
	v_mul_lo_u32 v3, v1, s38
	s_add_u32 s2, s2, 12
	v_sub_u32_e32 v7, v6, v3
	s_addc_u32 s3, s3, 0
	s_add_i32 s36, s36, -1
	v_mov_b32_e32 v6, v1
	v_mad_u64_u32 v[4:5], s[38:39], v7, s37, v[4:5]
	v_mad_u64_u32 v[0:1], s[38:39], v7, s41, v[0:1]
	s_cmp_lg_u32 s36, 0
	v_mad_u64_u32 v[2:3], s[38:39], v7, s40, v[2:3]
	v_mov_b32_e32 v1, v4
	s_cbranch_scc1 .LBB8_40
.LBB8_41:
	s_cbranch_execnz .LBB8_44
.LBB8_42:
	v_mul_hi_u32 v0, s22, v14
	v_add_u32_e32 v0, v14, v0
	v_lshrrev_b32_e32 v1, s23, v0
	v_mul_lo_u32 v0, v1, s21
	v_sub_u32_e32 v0, v14, v0
	v_mul_lo_u32 v2, v0, s28
	v_mul_lo_u32 v4, v0, s30
	s_andn2_b64 vcc, exec, s[60:61]
	v_mul_lo_u32 v0, v0, s29
	s_cbranch_vccnz .LBB8_44
; %bb.43:
	v_mul_hi_u32 v3, s25, v1
	v_add_u32_e32 v3, v1, v3
	v_lshrrev_b32_e32 v3, s26, v3
	v_mul_lo_u32 v3, v3, s24
	v_sub_u32_e32 v5, v1, v3
	v_mad_u64_u32 v[2:3], s[2:3], v5, s31, v[2:3]
	v_mad_u64_u32 v[0:1], s[2:3], v5, s34, v[0:1]
	;; [unrolled: 1-line block ×3, first 2 shown]
.LBB8_44:
	global_load_dwordx2 v[4:5], v4, s[8:9]
	v_mov_b64_e32 v[6:7], 0
	s_waitcnt vmcnt(0)
	v_cmp_lt_i64_e32 vcc, s[10:11], v[4:5]
	s_and_saveexec_b64 s[36:37], vcc
	s_cbranch_execz .LBB8_50
; %bb.45:
	v_mov_b32_e32 v1, s11
	v_subrev_co_u32_e32 v8, vcc, s10, v4
	v_mov_b32_e32 v10, 0
	s_nop 0
	v_subb_co_u32_e32 v9, vcc, v5, v1, vcc
	v_or_b32_e32 v11, s13, v9
	v_cmp_ne_u64_e32 vcc, 0, v[10:11]
                                        ; implicit-def: $vgpr6_vgpr7
	s_and_saveexec_b64 s[2:3], vcc
	s_xor_b64 s[38:39], exec, s[2:3]
	s_cbranch_execz .LBB8_47
; %bb.46:
	s_ashr_i32 s40, s13, 31
	s_add_u32 s2, s12, s40
	s_mov_b32 s41, s40
	s_addc_u32 s3, s13, s40
	s_xor_b64 s[42:43], s[2:3], s[40:41]
	v_cvt_f32_u32_e32 v1, s42
	v_cvt_f32_u32_e32 v3, s43
	s_sub_u32 s20, 0, s42
	s_subb_u32 s41, 0, s43
	v_ashrrev_i32_e32 v6, 31, v9
	v_fmamk_f32 v1, v3, 0x4f800000, v1
	v_rcp_f32_e32 v1, v1
	v_mov_b32_e32 v7, v6
	v_lshl_add_u64 v[8:9], v[8:9], 0, v[6:7]
	v_mov_b32_e32 v13, v10
	v_mul_f32_e32 v1, 0x5f7ffffc, v1
	v_mul_f32_e32 v3, 0x2f800000, v1
	v_trunc_f32_e32 v3, v3
	v_fmamk_f32 v1, v3, 0xcf800000, v1
	v_cvt_u32_f32_e32 v3, v3
	v_cvt_u32_f32_e32 v1, v1
	v_readfirstlane_b32 s44, v3
	v_readfirstlane_b32 s2, v1
	s_mul_i32 s3, s20, s44
	s_mul_hi_u32 s46, s20, s2
	s_mul_i32 s45, s41, s2
	s_add_i32 s3, s46, s3
	s_add_i32 s3, s3, s45
	s_mul_i32 s47, s20, s2
	s_mul_i32 s46, s2, s3
	s_mul_hi_u32 s48, s2, s47
	s_mul_hi_u32 s45, s2, s3
	s_add_u32 s46, s48, s46
	s_addc_u32 s45, 0, s45
	s_mul_hi_u32 s49, s44, s47
	s_mul_i32 s47, s44, s47
	s_add_u32 s46, s46, s47
	s_mul_hi_u32 s48, s44, s3
	s_addc_u32 s45, s45, s49
	s_addc_u32 s46, s48, 0
	s_mul_i32 s3, s44, s3
	s_add_u32 s3, s45, s3
	s_addc_u32 s45, 0, s46
	s_add_u32 s46, s2, s3
	s_cselect_b64 s[2:3], -1, 0
	s_cmp_lg_u64 s[2:3], 0
	s_addc_u32 s44, s44, s45
	s_mul_i32 s2, s20, s44
	s_mul_hi_u32 s3, s20, s46
	s_add_i32 s2, s3, s2
	s_mul_i32 s41, s41, s46
	s_add_i32 s2, s2, s41
	s_mul_i32 s20, s20, s46
	s_mul_hi_u32 s41, s44, s20
	s_mul_i32 s45, s44, s20
	s_mul_i32 s48, s46, s2
	s_mul_hi_u32 s20, s46, s20
	s_mul_hi_u32 s47, s46, s2
	s_add_u32 s20, s20, s48
	s_addc_u32 s47, 0, s47
	s_add_u32 s20, s20, s45
	s_mul_hi_u32 s3, s44, s2
	s_addc_u32 s20, s47, s41
	s_addc_u32 s3, s3, 0
	s_mul_i32 s2, s44, s2
	s_add_u32 s2, s20, s2
	s_addc_u32 s20, 0, s3
	s_add_u32 s41, s46, s2
	s_cselect_b64 s[2:3], -1, 0
	s_cmp_lg_u64 s[2:3], 0
	s_addc_u32 s20, s44, s20
	v_xor_b32_e32 v3, v8, v6
	v_xor_b32_e32 v1, v9, v6
	v_mad_u64_u32 v[8:9], s[2:3], v3, s20, 0
	v_mul_hi_u32 v12, v3, s41
	v_lshl_add_u64 v[8:9], v[12:13], 0, v[8:9]
	v_mad_u64_u32 v[16:17], s[2:3], v1, s41, 0
	v_add_co_u32_e32 v7, vcc, v8, v16
	v_mad_u64_u32 v[12:13], s[2:3], v1, s20, 0
	s_nop 0
	v_addc_co_u32_e32 v8, vcc, v9, v17, vcc
	v_mov_b32_e32 v9, v10
	s_nop 0
	v_addc_co_u32_e32 v13, vcc, 0, v13, vcc
	v_lshl_add_u64 v[8:9], v[8:9], 0, v[12:13]
	v_mul_lo_u32 v7, s43, v8
	v_mul_lo_u32 v12, s42, v9
	v_mad_u64_u32 v[10:11], s[2:3], s42, v8, 0
	v_add3_u32 v7, v11, v12, v7
	v_sub_u32_e32 v11, v1, v7
	v_mov_b32_e32 v12, s43
	v_sub_co_u32_e32 v3, vcc, v3, v10
	s_nop 1
	v_subb_co_u32_e64 v10, s[2:3], v11, v12, vcc
	v_subrev_co_u32_e64 v11, s[2:3], s42, v3
	v_subb_co_u32_e32 v1, vcc, v1, v7, vcc
	s_nop 0
	v_subbrev_co_u32_e64 v10, s[2:3], 0, v10, s[2:3]
	v_cmp_le_u32_e64 s[2:3], s43, v10
	v_cmp_le_u32_e32 vcc, s43, v1
	s_nop 0
	v_cndmask_b32_e64 v12, 0, -1, s[2:3]
	v_cmp_le_u32_e64 s[2:3], s42, v11
	v_cndmask_b32_e64 v7, 0, -1, vcc
	v_cmp_le_u32_e32 vcc, s42, v3
	v_cndmask_b32_e64 v11, 0, -1, s[2:3]
	v_cmp_eq_u32_e64 s[2:3], s43, v10
	v_cndmask_b32_e64 v3, 0, -1, vcc
	v_cmp_eq_u32_e32 vcc, s43, v1
	v_cndmask_b32_e64 v15, v12, v11, s[2:3]
	v_lshl_add_u64 v[10:11], v[8:9], 0, 2
	v_lshl_add_u64 v[12:13], v[8:9], 0, 1
	v_cmp_ne_u32_e64 s[2:3], 0, v15
	v_cndmask_b32_e32 v1, v7, v3, vcc
	v_cmp_ne_u32_e32 vcc, 0, v1
	v_cndmask_b32_e64 v3, v12, v10, s[2:3]
	v_cndmask_b32_e64 v11, v13, v11, s[2:3]
	v_cndmask_b32_e32 v3, v8, v3, vcc
	v_xor_b32_e32 v7, s40, v6
	v_cndmask_b32_e32 v1, v9, v11, vcc
	v_xor_b32_e32 v3, v3, v7
	v_xor_b32_e32 v1, v1, v7
	v_sub_co_u32_e32 v6, vcc, v3, v7
                                        ; implicit-def: $vgpr8
	s_nop 1
	v_subb_co_u32_e32 v7, vcc, v1, v7, vcc
.LBB8_47:
	s_andn2_saveexec_b64 s[2:3], s[38:39]
	s_cbranch_execz .LBB8_49
; %bb.48:
	v_cvt_f32_u32_e32 v1, s12
	s_sub_i32 s20, 0, s12
	v_rcp_iflag_f32_e32 v1, v1
	s_nop 0
	v_mul_f32_e32 v1, 0x4f7ffffe, v1
	v_cvt_u32_f32_e32 v1, v1
	v_mul_lo_u32 v3, s20, v1
	v_mul_hi_u32 v3, v1, v3
	v_add_u32_e32 v1, v1, v3
	v_mul_hi_u32 v1, v8, v1
	v_mul_lo_u32 v3, v1, s12
	v_sub_u32_e32 v3, v8, v3
	v_add_u32_e32 v6, 1, v1
	v_subrev_u32_e32 v7, s12, v3
	v_cmp_le_u32_e32 vcc, s12, v3
	s_nop 1
	v_cndmask_b32_e32 v3, v3, v7, vcc
	v_cndmask_b32_e32 v1, v1, v6, vcc
	v_add_u32_e32 v6, 1, v1
	v_cmp_le_u32_e32 vcc, s12, v3
	v_mov_b32_e32 v7, 0
	s_nop 0
	v_cndmask_b32_e32 v6, v1, v6, vcc
.LBB8_49:
	s_or_b64 exec, exec, s[2:3]
.LBB8_50:
	s_or_b64 exec, exec, s[36:37]
	v_or_b32_e32 v9, s13, v5
	v_mov_b32_e32 v8, 0
	v_cmp_ne_u64_e32 vcc, 0, v[8:9]
                                        ; implicit-def: $vgpr10_vgpr11
	s_and_saveexec_b64 s[2:3], vcc
	s_xor_b64 s[36:37], exec, s[2:3]
	s_cbranch_execz .LBB8_52
; %bb.51:
	s_ashr_i32 s38, s13, 31
	s_add_u32 s2, s12, s38
	s_mov_b32 s39, s38
	s_addc_u32 s3, s13, s38
	s_xor_b64 s[40:41], s[2:3], s[38:39]
	v_cvt_f32_u32_e32 v1, s40
	v_cvt_f32_u32_e32 v3, s41
	s_sub_u32 s20, 0, s40
	s_subb_u32 s39, 0, s41
	v_ashrrev_i32_e32 v10, 31, v5
	v_fmamk_f32 v1, v3, 0x4f800000, v1
	v_rcp_f32_e32 v1, v1
	v_mov_b32_e32 v11, v10
	v_lshl_add_u64 v[12:13], v[4:5], 0, v[10:11]
	v_mov_b32_e32 v17, v8
	v_mul_f32_e32 v1, 0x5f7ffffc, v1
	v_mul_f32_e32 v3, 0x2f800000, v1
	v_trunc_f32_e32 v3, v3
	v_fmamk_f32 v1, v3, 0xcf800000, v1
	v_cvt_u32_f32_e32 v3, v3
	v_cvt_u32_f32_e32 v1, v1
	v_readfirstlane_b32 s42, v3
	v_readfirstlane_b32 s2, v1
	s_mul_i32 s3, s20, s42
	s_mul_hi_u32 s44, s20, s2
	s_mul_i32 s43, s39, s2
	s_add_i32 s3, s44, s3
	s_add_i32 s3, s3, s43
	s_mul_i32 s45, s20, s2
	s_mul_i32 s44, s2, s3
	s_mul_hi_u32 s46, s2, s45
	s_mul_hi_u32 s43, s2, s3
	s_add_u32 s44, s46, s44
	s_addc_u32 s43, 0, s43
	s_mul_hi_u32 s47, s42, s45
	s_mul_i32 s45, s42, s45
	s_add_u32 s44, s44, s45
	s_mul_hi_u32 s46, s42, s3
	s_addc_u32 s43, s43, s47
	s_addc_u32 s44, s46, 0
	s_mul_i32 s3, s42, s3
	s_add_u32 s3, s43, s3
	s_addc_u32 s43, 0, s44
	s_add_u32 s44, s2, s3
	s_cselect_b64 s[2:3], -1, 0
	s_cmp_lg_u64 s[2:3], 0
	s_addc_u32 s42, s42, s43
	s_mul_i32 s2, s20, s42
	s_mul_hi_u32 s3, s20, s44
	s_add_i32 s2, s3, s2
	s_mul_i32 s39, s39, s44
	s_add_i32 s2, s2, s39
	s_mul_i32 s20, s20, s44
	s_mul_hi_u32 s39, s42, s20
	s_mul_i32 s43, s42, s20
	s_mul_i32 s46, s44, s2
	s_mul_hi_u32 s20, s44, s20
	s_mul_hi_u32 s45, s44, s2
	s_add_u32 s20, s20, s46
	s_addc_u32 s45, 0, s45
	s_add_u32 s20, s20, s43
	s_mul_hi_u32 s3, s42, s2
	s_addc_u32 s20, s45, s39
	s_addc_u32 s3, s3, 0
	s_mul_i32 s2, s42, s2
	s_add_u32 s2, s20, s2
	s_addc_u32 s20, 0, s3
	s_add_u32 s39, s44, s2
	s_cselect_b64 s[2:3], -1, 0
	s_cmp_lg_u64 s[2:3], 0
	s_addc_u32 s20, s42, s20
	v_xor_b32_e32 v3, v12, v10
	v_xor_b32_e32 v1, v13, v10
	v_mad_u64_u32 v[12:13], s[2:3], v3, s20, 0
	v_mul_hi_u32 v16, v3, s39
	v_lshl_add_u64 v[12:13], v[16:17], 0, v[12:13]
	v_mad_u64_u32 v[18:19], s[2:3], v1, s39, 0
	v_add_co_u32_e32 v9, vcc, v12, v18
	v_mad_u64_u32 v[16:17], s[2:3], v1, s20, 0
	s_nop 0
	v_addc_co_u32_e32 v12, vcc, v13, v19, vcc
	v_mov_b32_e32 v13, v8
	s_nop 0
	v_addc_co_u32_e32 v17, vcc, 0, v17, vcc
	v_lshl_add_u64 v[8:9], v[12:13], 0, v[16:17]
	v_mul_lo_u32 v11, s41, v8
	v_mul_lo_u32 v15, s40, v9
	v_mad_u64_u32 v[12:13], s[2:3], s40, v8, 0
	v_add3_u32 v11, v13, v15, v11
	v_sub_u32_e32 v13, v1, v11
	v_mov_b32_e32 v15, s41
	v_sub_co_u32_e32 v3, vcc, v3, v12
	v_lshl_add_u64 v[16:17], v[8:9], 0, 1
	s_nop 0
	v_subb_co_u32_e64 v12, s[2:3], v13, v15, vcc
	v_subrev_co_u32_e64 v13, s[2:3], s40, v3
	v_subb_co_u32_e32 v1, vcc, v1, v11, vcc
	s_nop 0
	v_subbrev_co_u32_e64 v12, s[2:3], 0, v12, s[2:3]
	v_cmp_le_u32_e64 s[2:3], s41, v12
	v_cmp_le_u32_e32 vcc, s41, v1
	s_nop 0
	v_cndmask_b32_e64 v15, 0, -1, s[2:3]
	v_cmp_le_u32_e64 s[2:3], s40, v13
	v_cndmask_b32_e64 v11, 0, -1, vcc
	v_cmp_le_u32_e32 vcc, s40, v3
	v_cndmask_b32_e64 v13, 0, -1, s[2:3]
	v_cmp_eq_u32_e64 s[2:3], s41, v12
	v_cndmask_b32_e64 v3, 0, -1, vcc
	v_cmp_eq_u32_e32 vcc, s41, v1
	v_cndmask_b32_e64 v15, v15, v13, s[2:3]
	v_lshl_add_u64 v[12:13], v[8:9], 0, 2
	v_cmp_ne_u32_e64 s[2:3], 0, v15
	v_cndmask_b32_e32 v1, v11, v3, vcc
	v_cmp_ne_u32_e32 vcc, 0, v1
	v_cndmask_b32_e64 v3, v16, v12, s[2:3]
	v_cndmask_b32_e64 v13, v17, v13, s[2:3]
	v_cndmask_b32_e32 v3, v8, v3, vcc
	v_xor_b32_e32 v8, s38, v10
	v_cndmask_b32_e32 v1, v9, v13, vcc
	v_xor_b32_e32 v3, v3, v8
	v_xor_b32_e32 v1, v1, v8
	v_sub_co_u32_e32 v10, vcc, v3, v8
	s_nop 1
	v_subb_co_u32_e32 v11, vcc, v1, v8, vcc
.LBB8_52:
	s_andn2_saveexec_b64 s[2:3], s[36:37]
	s_cbranch_execz .LBB8_54
; %bb.53:
	v_cvt_f32_u32_e32 v1, s12
	s_sub_i32 s20, 0, s12
	v_mov_b32_e32 v11, 0
	v_rcp_iflag_f32_e32 v1, v1
	s_nop 0
	v_mul_f32_e32 v1, 0x4f7ffffe, v1
	v_cvt_u32_f32_e32 v1, v1
	v_mul_lo_u32 v3, s20, v1
	v_mul_hi_u32 v3, v1, v3
	v_add_u32_e32 v1, v1, v3
	v_mul_hi_u32 v1, v4, v1
	v_mul_lo_u32 v3, v1, s12
	v_sub_u32_e32 v3, v4, v3
	v_add_u32_e32 v8, 1, v1
	v_subrev_u32_e32 v9, s12, v3
	v_cmp_le_u32_e32 vcc, s12, v3
	s_nop 1
	v_cndmask_b32_e32 v3, v3, v9, vcc
	v_cndmask_b32_e32 v1, v1, v8, vcc
	v_add_u32_e32 v8, 1, v1
	v_cmp_le_u32_e32 vcc, s12, v3
	s_nop 1
	v_cndmask_b32_e32 v10, v1, v8, vcc
.LBB8_54:
	s_or_b64 exec, exec, s[2:3]
	v_mul_lo_u32 v1, v7, s12
	v_mul_lo_u32 v3, v6, s13
	v_mad_u64_u32 v[8:9], s[2:3], v6, s12, 0
	v_add3_u32 v9, v9, v3, v1
	v_cmp_gt_i64_e32 vcc, v[8:9], v[4:5]
	v_mov_b64_e32 v[8:9], s[10:11]
	v_mad_u64_u32 v[8:9], s[2:3], v6, s12, v[8:9]
	v_add3_u32 v9, v1, v9, v3
	v_cmp_ge_i64_e64 s[2:3], v[4:5], v[8:9]
	s_or_b64 s[2:3], vcc, s[2:3]
	v_mov_b32_e32 v1, s15
	v_cndmask_b32_e64 v8, 0, 1, s[2:3]
	s_mov_b32 s2, 0
	v_mov_b32_e32 v9, s2
	v_cmp_gt_i64_e32 vcc, s[14:15], v[10:11]
	v_lshl_add_u64 v[12:13], v[6:7], 0, v[8:9]
	s_nop 0
	v_cndmask_b32_e32 v7, v1, v11, vcc
	v_mov_b32_e32 v1, s14
	v_cndmask_b32_e32 v6, v1, v10, vcc
	v_cmp_le_i64_e32 vcc, v[12:13], v[6:7]
	s_and_saveexec_b64 s[2:3], vcc
	s_cbranch_execz .LBB8_57
; %bb.55:
	global_load_dwordx2 v[8:9], v2, s[4:5]
	v_mul_lo_u32 v15, s13, v12
	v_mul_lo_u32 v18, s12, v13
	v_mad_u64_u32 v[16:17], s[36:37], s12, v12, 0
	v_add3_u32 v15, v17, v18, v15
	v_sub_co_u32_e32 v4, vcc, v4, v16
	v_mov_b32_e32 v3, 0
	s_nop 0
	v_subb_co_u32_e32 v5, vcc, v5, v15, vcc
	v_mul_lo_u32 v15, s19, v4
	v_mul_lo_u32 v16, s18, v5
	v_mad_u64_u32 v[4:5], s[36:37], s18, v4, 0
	v_lshl_add_u64 v[10:11], s[4:5], 0, v[2:3]
	v_mov_b32_e32 v1, v3
	v_lshl_add_u64 v[2:3], v[12:13], 0, -1
	v_add3_u32 v5, v5, v16, v15
	v_mul_lo_u32 v15, s17, v12
	v_mul_lo_u32 v16, s16, v13
	v_mad_u64_u32 v[12:13], s[36:37], s16, v12, 0
	s_mul_i32 s20, s12, s19
	s_mul_hi_u32 s38, s12, s18
	v_add3_u32 v13, v13, v16, v15
	s_add_i32 s20, s38, s20
	s_mul_i32 s38, s13, s18
	v_lshlrev_b64 v[12:13], 3, v[12:13]
	s_add_i32 s39, s20, s38
	s_mul_i32 s38, s12, s18
	v_lshl_add_u64 v[4:5], v[4:5], 3, v[12:13]
	s_lshl_b64 s[36:37], s[16:17], 3
	s_lshl_b64 s[38:39], s[38:39], 3
	v_lshl_add_u64 v[0:1], v[4:5], 0, v[0:1]
	s_sub_u32 s36, s36, s38
	v_lshl_add_u64 v[0:1], s[6:7], 0, v[0:1]
	s_subb_u32 s37, s37, s39
	s_mov_b64 s[38:39], 0
.LBB8_56:                               ; =>This Inner Loop Header: Depth=1
	global_load_dwordx2 v[4:5], v[0:1], off
	v_lshl_add_u64 v[2:3], v[2:3], 0, 1
	v_cmp_ge_i64_e32 vcc, v[2:3], v[6:7]
	v_lshl_add_u64 v[0:1], v[0:1], 0, s[36:37]
	s_or_b64 s[38:39], vcc, s[38:39]
	s_waitcnt vmcnt(0)
	v_pk_add_f32 v[8:9], v[8:9], v[4:5]
	global_store_dwordx2 v[10:11], v[8:9], off
	s_andn2_b64 exec, exec, s[38:39]
	s_cbranch_execnz .LBB8_56
.LBB8_57:
	s_or_b64 exec, exec, s[2:3]
	v_add_u32_e32 v14, 0x100, v14
	s_or_b64 exec, exec, s[66:67]
	v_cmp_gt_i32_e32 vcc, s70, v14
	s_and_saveexec_b64 s[66:67], vcc
	s_cbranch_execz .LBB8_3
.LBB8_58:
	s_and_b64 vcc, exec, s[0:1]
	s_cbranch_vccnz .LBB8_64
; %bb.59:
	v_mov_b32_e32 v4, 0
	s_andn2_b64 vcc, exec, s[64:65]
	v_mov_b32_e32 v0, 0
	v_mov_b32_e32 v2, 0
	s_cbranch_vccnz .LBB8_68
; %bb.60:
	s_add_i32 s71, s69, 1
	s_cmp_eq_u32 s68, 2
	s_cbranch_scc1 .LBB8_65
; %bb.61:
	s_and_b32 s20, s71, 28
	v_mov_b32_e32 v2, 0
	s_mov_b32 s72, 0
	s_mov_b64 s[2:3], s[62:63]
	v_mov_b32_e32 v6, v14
	v_mov_b32_e32 v0, 0
	;; [unrolled: 1-line block ×3, first 2 shown]
.LBB8_62:                               ; =>This Inner Loop Header: Depth=1
	s_load_dwordx8 s[36:43], s[2:3], 0x0
	s_load_dwordx4 s[52:55], s[2:3], 0x20
	s_load_dwordx4 s[56:59], s[2:3], 0xe0
	s_load_dwordx8 s[44:51], s[2:3], 0xc0
	s_add_i32 s72, s72, 4
	s_waitcnt lgkmcnt(0)
	v_mul_hi_u32 v1, s37, v6
	v_add_u32_e32 v1, v6, v1
	v_lshrrev_b32_e32 v1, s38, v1
	v_mul_hi_u32 v5, s40, v1
	v_add_u32_e32 v5, v1, v5
	v_lshrrev_b32_e32 v5, s41, v5
	v_mul_lo_u32 v3, v1, s36
	v_mul_lo_u32 v8, v5, s39
	v_mul_hi_u32 v9, s43, v5
	v_sub_u32_e32 v3, v6, v3
	v_sub_u32_e32 v1, v1, v8
	v_add_u32_e32 v8, v5, v9
	v_mul_lo_u32 v6, v3, s44
	v_mul_lo_u32 v7, v3, s46
	v_mul_lo_u32 v3, v3, s45
	v_mul_lo_u32 v9, v1, s47
	v_mul_lo_u32 v10, v1, s49
	v_mul_lo_u32 v1, v1, s48
	v_lshrrev_b32_e32 v8, s52, v8
	v_add3_u32 v0, v3, v0, v1
	v_add3_u32 v1, v7, v4, v10
	v_mul_hi_u32 v4, s54, v8
	v_add_u32_e32 v4, v8, v4
	v_add3_u32 v2, v6, v2, v9
	v_lshrrev_b32_e32 v6, s55, v4
	v_mul_lo_u32 v3, v8, s42
	v_mul_lo_u32 v4, v6, s53
	s_add_u32 s2, s2, 48
	v_sub_u32_e32 v3, v5, v3
	v_sub_u32_e32 v4, v8, v4
	s_addc_u32 s3, s3, 0
	v_mul_lo_u32 v5, v3, s50
	v_mul_lo_u32 v7, v3, s51
	;; [unrolled: 1-line block ×6, first 2 shown]
	s_cmp_eq_u32 s20, s72
	v_add3_u32 v2, v5, v2, v8
	v_add3_u32 v4, v3, v1, v4
	;; [unrolled: 1-line block ×3, first 2 shown]
	s_cbranch_scc0 .LBB8_62
; %bb.63:
	v_mov_b32_e32 v1, v4
	s_and_b32 s36, s71, 3
	s_cmp_eq_u32 s36, 0
	s_cbranch_scc0 .LBB8_66
	s_branch .LBB8_68
.LBB8_64:
                                        ; implicit-def: $vgpr4
                                        ; implicit-def: $vgpr0
                                        ; implicit-def: $vgpr2
	s_branch .LBB8_69
.LBB8_65:
	v_mov_b32_e32 v0, 0
	s_mov_b32 s20, 0
	v_mov_b32_e32 v1, v0
                                        ; implicit-def: $vgpr4
	v_mov_b32_e32 v6, v14
	v_mov_b32_e32 v2, v0
	s_and_b32 s36, s71, 3
	s_cmp_eq_u32 s36, 0
	s_cbranch_scc1 .LBB8_68
.LBB8_66:
	s_mul_i32 s2, s20, 12
	s_add_u32 s2, s27, s2
	s_addc_u32 s3, s33, 0
	s_add_u32 s2, s2, 4
	s_addc_u32 s3, s3, 0
.LBB8_67:                               ; =>This Inner Loop Header: Depth=1
	s_load_dwordx2 s[38:39], s[2:3], 0x0
	s_load_dword s20, s[2:3], 0x8
	s_load_dwordx2 s[40:41], s[2:3], 0xc0
	s_load_dword s37, s[2:3], 0xc8
	v_mov_b32_e32 v4, v1
	s_waitcnt lgkmcnt(0)
	v_mul_hi_u32 v1, s39, v6
	v_add_u32_e32 v1, v6, v1
	v_lshrrev_b32_e32 v1, s20, v1
	v_mul_lo_u32 v3, v1, s38
	s_add_u32 s2, s2, 12
	v_sub_u32_e32 v7, v6, v3
	s_addc_u32 s3, s3, 0
	s_add_i32 s36, s36, -1
	v_mov_b32_e32 v6, v1
	v_mad_u64_u32 v[4:5], s[38:39], v7, s37, v[4:5]
	v_mad_u64_u32 v[0:1], s[38:39], v7, s41, v[0:1]
	s_cmp_lg_u32 s36, 0
	v_mad_u64_u32 v[2:3], s[38:39], v7, s40, v[2:3]
	v_mov_b32_e32 v1, v4
	s_cbranch_scc1 .LBB8_67
.LBB8_68:
	s_cbranch_execnz .LBB8_71
.LBB8_69:
	v_mul_hi_u32 v0, s22, v14
	v_add_u32_e32 v0, v14, v0
	v_lshrrev_b32_e32 v1, s23, v0
	v_mul_lo_u32 v0, v1, s21
	v_sub_u32_e32 v0, v14, v0
	v_mul_lo_u32 v2, v0, s28
	v_mul_lo_u32 v4, v0, s30
	s_andn2_b64 vcc, exec, s[60:61]
	v_mul_lo_u32 v0, v0, s29
	s_cbranch_vccnz .LBB8_71
; %bb.70:
	v_mul_hi_u32 v3, s25, v1
	v_add_u32_e32 v3, v1, v3
	v_lshrrev_b32_e32 v3, s26, v3
	v_mul_lo_u32 v3, v3, s24
	v_sub_u32_e32 v5, v1, v3
	v_mad_u64_u32 v[2:3], s[2:3], v5, s31, v[2:3]
	v_mad_u64_u32 v[0:1], s[2:3], v5, s34, v[0:1]
	;; [unrolled: 1-line block ×3, first 2 shown]
.LBB8_71:
	global_load_dwordx2 v[4:5], v4, s[8:9]
	v_mov_b64_e32 v[6:7], 0
	s_waitcnt vmcnt(0)
	v_cmp_lt_i64_e32 vcc, s[10:11], v[4:5]
	s_and_saveexec_b64 s[36:37], vcc
	s_cbranch_execz .LBB8_77
; %bb.72:
	v_mov_b32_e32 v1, s11
	v_subrev_co_u32_e32 v8, vcc, s10, v4
	v_mov_b32_e32 v10, 0
	s_nop 0
	v_subb_co_u32_e32 v9, vcc, v5, v1, vcc
	v_or_b32_e32 v11, s13, v9
	v_cmp_ne_u64_e32 vcc, 0, v[10:11]
                                        ; implicit-def: $vgpr6_vgpr7
	s_and_saveexec_b64 s[2:3], vcc
	s_xor_b64 s[38:39], exec, s[2:3]
	s_cbranch_execz .LBB8_74
; %bb.73:
	s_ashr_i32 s40, s13, 31
	s_add_u32 s2, s12, s40
	s_mov_b32 s41, s40
	s_addc_u32 s3, s13, s40
	s_xor_b64 s[42:43], s[2:3], s[40:41]
	v_cvt_f32_u32_e32 v1, s42
	v_cvt_f32_u32_e32 v3, s43
	s_sub_u32 s20, 0, s42
	s_subb_u32 s41, 0, s43
	v_ashrrev_i32_e32 v6, 31, v9
	v_fmamk_f32 v1, v3, 0x4f800000, v1
	v_rcp_f32_e32 v1, v1
	v_mov_b32_e32 v7, v6
	v_lshl_add_u64 v[8:9], v[8:9], 0, v[6:7]
	v_mov_b32_e32 v13, v10
	v_mul_f32_e32 v1, 0x5f7ffffc, v1
	v_mul_f32_e32 v3, 0x2f800000, v1
	v_trunc_f32_e32 v3, v3
	v_fmamk_f32 v1, v3, 0xcf800000, v1
	v_cvt_u32_f32_e32 v3, v3
	v_cvt_u32_f32_e32 v1, v1
	v_readfirstlane_b32 s44, v3
	v_readfirstlane_b32 s2, v1
	s_mul_i32 s3, s20, s44
	s_mul_hi_u32 s46, s20, s2
	s_mul_i32 s45, s41, s2
	s_add_i32 s3, s46, s3
	s_add_i32 s3, s3, s45
	s_mul_i32 s47, s20, s2
	s_mul_i32 s46, s2, s3
	s_mul_hi_u32 s48, s2, s47
	s_mul_hi_u32 s45, s2, s3
	s_add_u32 s46, s48, s46
	s_addc_u32 s45, 0, s45
	s_mul_hi_u32 s49, s44, s47
	s_mul_i32 s47, s44, s47
	s_add_u32 s46, s46, s47
	s_mul_hi_u32 s48, s44, s3
	s_addc_u32 s45, s45, s49
	s_addc_u32 s46, s48, 0
	s_mul_i32 s3, s44, s3
	s_add_u32 s3, s45, s3
	s_addc_u32 s45, 0, s46
	s_add_u32 s46, s2, s3
	s_cselect_b64 s[2:3], -1, 0
	s_cmp_lg_u64 s[2:3], 0
	s_addc_u32 s44, s44, s45
	s_mul_i32 s2, s20, s44
	s_mul_hi_u32 s3, s20, s46
	s_add_i32 s2, s3, s2
	s_mul_i32 s41, s41, s46
	s_add_i32 s2, s2, s41
	s_mul_i32 s20, s20, s46
	s_mul_hi_u32 s41, s44, s20
	s_mul_i32 s45, s44, s20
	s_mul_i32 s48, s46, s2
	s_mul_hi_u32 s20, s46, s20
	s_mul_hi_u32 s47, s46, s2
	s_add_u32 s20, s20, s48
	s_addc_u32 s47, 0, s47
	s_add_u32 s20, s20, s45
	s_mul_hi_u32 s3, s44, s2
	s_addc_u32 s20, s47, s41
	s_addc_u32 s3, s3, 0
	s_mul_i32 s2, s44, s2
	s_add_u32 s2, s20, s2
	s_addc_u32 s20, 0, s3
	s_add_u32 s41, s46, s2
	s_cselect_b64 s[2:3], -1, 0
	s_cmp_lg_u64 s[2:3], 0
	s_addc_u32 s20, s44, s20
	v_xor_b32_e32 v3, v8, v6
	v_xor_b32_e32 v1, v9, v6
	v_mad_u64_u32 v[8:9], s[2:3], v3, s20, 0
	v_mul_hi_u32 v12, v3, s41
	v_lshl_add_u64 v[8:9], v[12:13], 0, v[8:9]
	v_mad_u64_u32 v[16:17], s[2:3], v1, s41, 0
	v_add_co_u32_e32 v7, vcc, v8, v16
	v_mad_u64_u32 v[12:13], s[2:3], v1, s20, 0
	s_nop 0
	v_addc_co_u32_e32 v8, vcc, v9, v17, vcc
	v_mov_b32_e32 v9, v10
	s_nop 0
	v_addc_co_u32_e32 v13, vcc, 0, v13, vcc
	v_lshl_add_u64 v[8:9], v[8:9], 0, v[12:13]
	v_mul_lo_u32 v7, s43, v8
	v_mul_lo_u32 v12, s42, v9
	v_mad_u64_u32 v[10:11], s[2:3], s42, v8, 0
	v_add3_u32 v7, v11, v12, v7
	v_sub_u32_e32 v11, v1, v7
	v_mov_b32_e32 v12, s43
	v_sub_co_u32_e32 v3, vcc, v3, v10
	s_nop 1
	v_subb_co_u32_e64 v10, s[2:3], v11, v12, vcc
	v_subrev_co_u32_e64 v11, s[2:3], s42, v3
	v_subb_co_u32_e32 v1, vcc, v1, v7, vcc
	s_nop 0
	v_subbrev_co_u32_e64 v10, s[2:3], 0, v10, s[2:3]
	v_cmp_le_u32_e64 s[2:3], s43, v10
	v_cmp_le_u32_e32 vcc, s43, v1
	s_nop 0
	v_cndmask_b32_e64 v12, 0, -1, s[2:3]
	v_cmp_le_u32_e64 s[2:3], s42, v11
	v_cndmask_b32_e64 v7, 0, -1, vcc
	v_cmp_le_u32_e32 vcc, s42, v3
	v_cndmask_b32_e64 v11, 0, -1, s[2:3]
	v_cmp_eq_u32_e64 s[2:3], s43, v10
	v_cndmask_b32_e64 v3, 0, -1, vcc
	v_cmp_eq_u32_e32 vcc, s43, v1
	v_cndmask_b32_e64 v15, v12, v11, s[2:3]
	v_lshl_add_u64 v[10:11], v[8:9], 0, 2
	v_lshl_add_u64 v[12:13], v[8:9], 0, 1
	v_cmp_ne_u32_e64 s[2:3], 0, v15
	v_cndmask_b32_e32 v1, v7, v3, vcc
	v_cmp_ne_u32_e32 vcc, 0, v1
	v_cndmask_b32_e64 v3, v12, v10, s[2:3]
	v_cndmask_b32_e64 v11, v13, v11, s[2:3]
	v_cndmask_b32_e32 v3, v8, v3, vcc
	v_xor_b32_e32 v7, s40, v6
	v_cndmask_b32_e32 v1, v9, v11, vcc
	v_xor_b32_e32 v3, v3, v7
	v_xor_b32_e32 v1, v1, v7
	v_sub_co_u32_e32 v6, vcc, v3, v7
                                        ; implicit-def: $vgpr8
	s_nop 1
	v_subb_co_u32_e32 v7, vcc, v1, v7, vcc
.LBB8_74:
	s_andn2_saveexec_b64 s[2:3], s[38:39]
	s_cbranch_execz .LBB8_76
; %bb.75:
	v_cvt_f32_u32_e32 v1, s12
	s_sub_i32 s20, 0, s12
	v_rcp_iflag_f32_e32 v1, v1
	s_nop 0
	v_mul_f32_e32 v1, 0x4f7ffffe, v1
	v_cvt_u32_f32_e32 v1, v1
	v_mul_lo_u32 v3, s20, v1
	v_mul_hi_u32 v3, v1, v3
	v_add_u32_e32 v1, v1, v3
	v_mul_hi_u32 v1, v8, v1
	v_mul_lo_u32 v3, v1, s12
	v_sub_u32_e32 v3, v8, v3
	v_add_u32_e32 v6, 1, v1
	v_subrev_u32_e32 v7, s12, v3
	v_cmp_le_u32_e32 vcc, s12, v3
	s_nop 1
	v_cndmask_b32_e32 v3, v3, v7, vcc
	v_cndmask_b32_e32 v1, v1, v6, vcc
	v_add_u32_e32 v6, 1, v1
	v_cmp_le_u32_e32 vcc, s12, v3
	v_mov_b32_e32 v7, 0
	s_nop 0
	v_cndmask_b32_e32 v6, v1, v6, vcc
.LBB8_76:
	s_or_b64 exec, exec, s[2:3]
.LBB8_77:
	s_or_b64 exec, exec, s[36:37]
	v_or_b32_e32 v9, s13, v5
	v_mov_b32_e32 v8, 0
	v_cmp_ne_u64_e32 vcc, 0, v[8:9]
                                        ; implicit-def: $vgpr10_vgpr11
	s_and_saveexec_b64 s[2:3], vcc
	s_xor_b64 s[36:37], exec, s[2:3]
	s_cbranch_execz .LBB8_79
; %bb.78:
	s_ashr_i32 s38, s13, 31
	s_add_u32 s2, s12, s38
	s_mov_b32 s39, s38
	s_addc_u32 s3, s13, s38
	s_xor_b64 s[40:41], s[2:3], s[38:39]
	v_cvt_f32_u32_e32 v1, s40
	v_cvt_f32_u32_e32 v3, s41
	s_sub_u32 s20, 0, s40
	s_subb_u32 s39, 0, s41
	v_ashrrev_i32_e32 v10, 31, v5
	v_fmamk_f32 v1, v3, 0x4f800000, v1
	v_rcp_f32_e32 v1, v1
	v_mov_b32_e32 v11, v10
	v_lshl_add_u64 v[12:13], v[4:5], 0, v[10:11]
	v_mov_b32_e32 v17, v8
	v_mul_f32_e32 v1, 0x5f7ffffc, v1
	v_mul_f32_e32 v3, 0x2f800000, v1
	v_trunc_f32_e32 v3, v3
	v_fmamk_f32 v1, v3, 0xcf800000, v1
	v_cvt_u32_f32_e32 v3, v3
	v_cvt_u32_f32_e32 v1, v1
	v_readfirstlane_b32 s42, v3
	v_readfirstlane_b32 s2, v1
	s_mul_i32 s3, s20, s42
	s_mul_hi_u32 s44, s20, s2
	s_mul_i32 s43, s39, s2
	s_add_i32 s3, s44, s3
	s_add_i32 s3, s3, s43
	s_mul_i32 s45, s20, s2
	s_mul_i32 s44, s2, s3
	s_mul_hi_u32 s46, s2, s45
	s_mul_hi_u32 s43, s2, s3
	s_add_u32 s44, s46, s44
	s_addc_u32 s43, 0, s43
	s_mul_hi_u32 s47, s42, s45
	s_mul_i32 s45, s42, s45
	s_add_u32 s44, s44, s45
	s_mul_hi_u32 s46, s42, s3
	s_addc_u32 s43, s43, s47
	s_addc_u32 s44, s46, 0
	s_mul_i32 s3, s42, s3
	s_add_u32 s3, s43, s3
	s_addc_u32 s43, 0, s44
	s_add_u32 s44, s2, s3
	s_cselect_b64 s[2:3], -1, 0
	s_cmp_lg_u64 s[2:3], 0
	s_addc_u32 s42, s42, s43
	s_mul_i32 s2, s20, s42
	s_mul_hi_u32 s3, s20, s44
	s_add_i32 s2, s3, s2
	s_mul_i32 s39, s39, s44
	s_add_i32 s2, s2, s39
	s_mul_i32 s20, s20, s44
	s_mul_hi_u32 s39, s42, s20
	s_mul_i32 s43, s42, s20
	s_mul_i32 s46, s44, s2
	s_mul_hi_u32 s20, s44, s20
	s_mul_hi_u32 s45, s44, s2
	s_add_u32 s20, s20, s46
	s_addc_u32 s45, 0, s45
	s_add_u32 s20, s20, s43
	s_mul_hi_u32 s3, s42, s2
	s_addc_u32 s20, s45, s39
	s_addc_u32 s3, s3, 0
	s_mul_i32 s2, s42, s2
	s_add_u32 s2, s20, s2
	s_addc_u32 s20, 0, s3
	s_add_u32 s39, s44, s2
	s_cselect_b64 s[2:3], -1, 0
	s_cmp_lg_u64 s[2:3], 0
	s_addc_u32 s20, s42, s20
	v_xor_b32_e32 v3, v12, v10
	v_xor_b32_e32 v1, v13, v10
	v_mad_u64_u32 v[12:13], s[2:3], v3, s20, 0
	v_mul_hi_u32 v16, v3, s39
	v_lshl_add_u64 v[12:13], v[16:17], 0, v[12:13]
	v_mad_u64_u32 v[18:19], s[2:3], v1, s39, 0
	v_add_co_u32_e32 v9, vcc, v12, v18
	v_mad_u64_u32 v[16:17], s[2:3], v1, s20, 0
	s_nop 0
	v_addc_co_u32_e32 v12, vcc, v13, v19, vcc
	v_mov_b32_e32 v13, v8
	s_nop 0
	v_addc_co_u32_e32 v17, vcc, 0, v17, vcc
	v_lshl_add_u64 v[8:9], v[12:13], 0, v[16:17]
	v_mul_lo_u32 v11, s41, v8
	v_mul_lo_u32 v15, s40, v9
	v_mad_u64_u32 v[12:13], s[2:3], s40, v8, 0
	v_add3_u32 v11, v13, v15, v11
	v_sub_u32_e32 v13, v1, v11
	v_mov_b32_e32 v15, s41
	v_sub_co_u32_e32 v3, vcc, v3, v12
	v_lshl_add_u64 v[16:17], v[8:9], 0, 1
	s_nop 0
	v_subb_co_u32_e64 v12, s[2:3], v13, v15, vcc
	v_subrev_co_u32_e64 v13, s[2:3], s40, v3
	v_subb_co_u32_e32 v1, vcc, v1, v11, vcc
	s_nop 0
	v_subbrev_co_u32_e64 v12, s[2:3], 0, v12, s[2:3]
	v_cmp_le_u32_e64 s[2:3], s41, v12
	v_cmp_le_u32_e32 vcc, s41, v1
	s_nop 0
	v_cndmask_b32_e64 v15, 0, -1, s[2:3]
	v_cmp_le_u32_e64 s[2:3], s40, v13
	v_cndmask_b32_e64 v11, 0, -1, vcc
	v_cmp_le_u32_e32 vcc, s40, v3
	v_cndmask_b32_e64 v13, 0, -1, s[2:3]
	v_cmp_eq_u32_e64 s[2:3], s41, v12
	v_cndmask_b32_e64 v3, 0, -1, vcc
	v_cmp_eq_u32_e32 vcc, s41, v1
	v_cndmask_b32_e64 v15, v15, v13, s[2:3]
	v_lshl_add_u64 v[12:13], v[8:9], 0, 2
	v_cmp_ne_u32_e64 s[2:3], 0, v15
	v_cndmask_b32_e32 v1, v11, v3, vcc
	v_cmp_ne_u32_e32 vcc, 0, v1
	v_cndmask_b32_e64 v3, v16, v12, s[2:3]
	v_cndmask_b32_e64 v13, v17, v13, s[2:3]
	v_cndmask_b32_e32 v3, v8, v3, vcc
	v_xor_b32_e32 v8, s38, v10
	v_cndmask_b32_e32 v1, v9, v13, vcc
	v_xor_b32_e32 v3, v3, v8
	v_xor_b32_e32 v1, v1, v8
	v_sub_co_u32_e32 v10, vcc, v3, v8
	s_nop 1
	v_subb_co_u32_e32 v11, vcc, v1, v8, vcc
.LBB8_79:
	s_andn2_saveexec_b64 s[2:3], s[36:37]
	s_cbranch_execz .LBB8_81
; %bb.80:
	v_cvt_f32_u32_e32 v1, s12
	s_sub_i32 s20, 0, s12
	v_mov_b32_e32 v11, 0
	v_rcp_iflag_f32_e32 v1, v1
	s_nop 0
	v_mul_f32_e32 v1, 0x4f7ffffe, v1
	v_cvt_u32_f32_e32 v1, v1
	v_mul_lo_u32 v3, s20, v1
	v_mul_hi_u32 v3, v1, v3
	v_add_u32_e32 v1, v1, v3
	v_mul_hi_u32 v1, v4, v1
	v_mul_lo_u32 v3, v1, s12
	v_sub_u32_e32 v3, v4, v3
	v_add_u32_e32 v8, 1, v1
	v_subrev_u32_e32 v9, s12, v3
	v_cmp_le_u32_e32 vcc, s12, v3
	s_nop 1
	v_cndmask_b32_e32 v3, v3, v9, vcc
	v_cndmask_b32_e32 v1, v1, v8, vcc
	v_add_u32_e32 v8, 1, v1
	v_cmp_le_u32_e32 vcc, s12, v3
	s_nop 1
	v_cndmask_b32_e32 v10, v1, v8, vcc
.LBB8_81:
	s_or_b64 exec, exec, s[2:3]
	v_mul_lo_u32 v1, v7, s12
	v_mul_lo_u32 v3, v6, s13
	v_mad_u64_u32 v[8:9], s[2:3], v6, s12, 0
	v_add3_u32 v9, v9, v3, v1
	v_cmp_gt_i64_e32 vcc, v[8:9], v[4:5]
	v_mov_b64_e32 v[8:9], s[10:11]
	v_mad_u64_u32 v[8:9], s[2:3], v6, s12, v[8:9]
	v_add3_u32 v9, v1, v9, v3
	v_cmp_ge_i64_e64 s[2:3], v[4:5], v[8:9]
	s_or_b64 s[2:3], vcc, s[2:3]
	v_mov_b32_e32 v1, s15
	v_cndmask_b32_e64 v8, 0, 1, s[2:3]
	s_mov_b32 s2, 0
	v_mov_b32_e32 v9, s2
	v_cmp_gt_i64_e32 vcc, s[14:15], v[10:11]
	v_lshl_add_u64 v[12:13], v[6:7], 0, v[8:9]
	s_nop 0
	v_cndmask_b32_e32 v7, v1, v11, vcc
	v_mov_b32_e32 v1, s14
	v_cndmask_b32_e32 v6, v1, v10, vcc
	v_cmp_le_i64_e32 vcc, v[12:13], v[6:7]
	s_and_saveexec_b64 s[2:3], vcc
	s_cbranch_execz .LBB8_84
; %bb.82:
	global_load_dwordx2 v[8:9], v2, s[4:5]
	v_mul_lo_u32 v15, s13, v12
	v_mul_lo_u32 v18, s12, v13
	v_mad_u64_u32 v[16:17], s[36:37], s12, v12, 0
	v_add3_u32 v15, v17, v18, v15
	v_sub_co_u32_e32 v4, vcc, v4, v16
	v_mov_b32_e32 v3, 0
	s_nop 0
	v_subb_co_u32_e32 v5, vcc, v5, v15, vcc
	v_mul_lo_u32 v15, s19, v4
	v_mul_lo_u32 v16, s18, v5
	v_mad_u64_u32 v[4:5], s[36:37], s18, v4, 0
	v_lshl_add_u64 v[10:11], s[4:5], 0, v[2:3]
	v_mov_b32_e32 v1, v3
	v_lshl_add_u64 v[2:3], v[12:13], 0, -1
	v_add3_u32 v5, v5, v16, v15
	v_mul_lo_u32 v15, s17, v12
	v_mul_lo_u32 v16, s16, v13
	v_mad_u64_u32 v[12:13], s[36:37], s16, v12, 0
	s_mul_i32 s20, s12, s19
	s_mul_hi_u32 s38, s12, s18
	v_add3_u32 v13, v13, v16, v15
	s_add_i32 s20, s38, s20
	s_mul_i32 s38, s13, s18
	v_lshlrev_b64 v[12:13], 3, v[12:13]
	s_add_i32 s39, s20, s38
	s_mul_i32 s38, s12, s18
	v_lshl_add_u64 v[4:5], v[4:5], 3, v[12:13]
	s_lshl_b64 s[36:37], s[16:17], 3
	s_lshl_b64 s[38:39], s[38:39], 3
	v_lshl_add_u64 v[0:1], v[4:5], 0, v[0:1]
	s_sub_u32 s36, s36, s38
	v_lshl_add_u64 v[0:1], s[6:7], 0, v[0:1]
	s_subb_u32 s37, s37, s39
	s_mov_b64 s[38:39], 0
.LBB8_83:                               ; =>This Inner Loop Header: Depth=1
	global_load_dwordx2 v[4:5], v[0:1], off
	v_lshl_add_u64 v[2:3], v[2:3], 0, 1
	v_cmp_ge_i64_e32 vcc, v[2:3], v[6:7]
	v_lshl_add_u64 v[0:1], v[0:1], 0, s[36:37]
	s_or_b64 s[38:39], vcc, s[38:39]
	s_waitcnt vmcnt(0)
	v_pk_add_f32 v[8:9], v[8:9], v[4:5]
	global_store_dwordx2 v[10:11], v[8:9], off
	s_andn2_b64 exec, exec, s[38:39]
	s_cbranch_execnz .LBB8_83
.LBB8_84:
	s_or_b64 exec, exec, s[2:3]
	v_add_u32_e32 v14, 0x100, v14
	s_or_b64 exec, exec, s[66:67]
	v_cmp_gt_i32_e32 vcc, s70, v14
	s_and_saveexec_b64 s[2:3], vcc
	s_cbranch_execz .LBB8_111
.LBB8_85:
	s_and_b64 vcc, exec, s[0:1]
	s_cbranch_vccnz .LBB8_91
; %bb.86:
	v_mov_b32_e32 v4, 0
	s_andn2_b64 vcc, exec, s[64:65]
	v_mov_b32_e32 v0, 0
	v_mov_b32_e32 v2, 0
	s_cbranch_vccnz .LBB8_95
; %bb.87:
	s_add_i32 s69, s69, 1
	s_cmp_eq_u32 s68, 2
	s_cbranch_scc1 .LBB8_92
; %bb.88:
	s_and_b32 s20, s69, 28
	v_mov_b32_e32 v2, 0
	s_mov_b32 s56, 0
	v_mov_b32_e32 v6, v14
	v_mov_b32_e32 v0, 0
	;; [unrolled: 1-line block ×3, first 2 shown]
.LBB8_89:                               ; =>This Inner Loop Header: Depth=1
	s_load_dwordx8 s[36:43], s[62:63], 0x0
	s_load_dwordx4 s[0:3], s[62:63], 0x20
	s_load_dwordx4 s[52:55], s[62:63], 0xe0
	s_load_dwordx8 s[44:51], s[62:63], 0xc0
	s_add_i32 s56, s56, 4
	s_waitcnt lgkmcnt(0)
	v_mul_hi_u32 v1, s37, v6
	v_add_u32_e32 v1, v6, v1
	v_lshrrev_b32_e32 v1, s38, v1
	v_mul_hi_u32 v5, s40, v1
	v_add_u32_e32 v5, v1, v5
	v_lshrrev_b32_e32 v5, s41, v5
	v_mul_lo_u32 v3, v1, s36
	v_mul_lo_u32 v8, v5, s39
	v_mul_hi_u32 v9, s43, v5
	v_sub_u32_e32 v3, v6, v3
	v_sub_u32_e32 v1, v1, v8
	v_add_u32_e32 v8, v5, v9
	v_mul_lo_u32 v6, v3, s44
	v_mul_lo_u32 v7, v3, s46
	;; [unrolled: 1-line block ×6, first 2 shown]
	v_lshrrev_b32_e32 v8, s0, v8
	v_add3_u32 v0, v3, v0, v1
	v_add3_u32 v1, v7, v4, v10
	v_mul_hi_u32 v4, s2, v8
	v_add_u32_e32 v4, v8, v4
	v_add3_u32 v2, v6, v2, v9
	v_lshrrev_b32_e32 v6, s3, v4
	v_mul_lo_u32 v3, v8, s42
	v_mul_lo_u32 v4, v6, s1
	s_add_u32 s62, s62, 48
	v_sub_u32_e32 v3, v5, v3
	v_sub_u32_e32 v4, v8, v4
	s_addc_u32 s63, s63, 0
	v_mul_lo_u32 v5, v3, s50
	v_mul_lo_u32 v7, v3, s51
	;; [unrolled: 1-line block ×6, first 2 shown]
	s_cmp_eq_u32 s20, s56
	v_add3_u32 v2, v5, v2, v8
	v_add3_u32 v4, v3, v1, v4
	;; [unrolled: 1-line block ×3, first 2 shown]
	s_cbranch_scc0 .LBB8_89
; %bb.90:
	v_mov_b32_e32 v1, v4
	s_and_b32 s2, s69, 3
	s_cmp_eq_u32 s2, 0
	s_cbranch_scc0 .LBB8_93
	s_branch .LBB8_95
.LBB8_91:
                                        ; implicit-def: $vgpr4
                                        ; implicit-def: $vgpr0
                                        ; implicit-def: $vgpr2
	s_branch .LBB8_96
.LBB8_92:
	v_mov_b32_e32 v0, 0
	s_mov_b32 s20, 0
	v_mov_b32_e32 v1, v0
                                        ; implicit-def: $vgpr4
	v_mov_b32_e32 v6, v14
	v_mov_b32_e32 v2, v0
	s_and_b32 s2, s69, 3
	s_cmp_eq_u32 s2, 0
	s_cbranch_scc1 .LBB8_95
.LBB8_93:
	s_mul_i32 s0, s20, 12
	s_add_u32 s0, s27, s0
	s_addc_u32 s1, s33, 0
	s_add_u32 s0, s0, 4
	s_addc_u32 s1, s1, 0
.LBB8_94:                               ; =>This Inner Loop Header: Depth=1
	s_load_dwordx2 s[36:37], s[0:1], 0x0
	s_load_dword s3, s[0:1], 0x8
	s_load_dwordx2 s[38:39], s[0:1], 0xc0
	s_load_dword s20, s[0:1], 0xc8
	v_mov_b32_e32 v4, v1
	s_waitcnt lgkmcnt(0)
	v_mul_hi_u32 v1, s37, v6
	v_add_u32_e32 v1, v6, v1
	v_lshrrev_b32_e32 v1, s3, v1
	v_mul_lo_u32 v3, v1, s36
	s_add_u32 s0, s0, 12
	v_sub_u32_e32 v7, v6, v3
	s_addc_u32 s1, s1, 0
	s_add_i32 s2, s2, -1
	v_mov_b32_e32 v6, v1
	v_mad_u64_u32 v[4:5], s[36:37], v7, s20, v[4:5]
	v_mad_u64_u32 v[0:1], s[36:37], v7, s39, v[0:1]
	s_cmp_lg_u32 s2, 0
	v_mad_u64_u32 v[2:3], s[36:37], v7, s38, v[2:3]
	v_mov_b32_e32 v1, v4
	s_cbranch_scc1 .LBB8_94
.LBB8_95:
	s_cbranch_execnz .LBB8_98
.LBB8_96:
	v_mul_hi_u32 v0, s22, v14
	v_add_u32_e32 v0, v14, v0
	v_lshrrev_b32_e32 v1, s23, v0
	v_mul_lo_u32 v0, v1, s21
	v_sub_u32_e32 v0, v14, v0
	v_mul_lo_u32 v2, v0, s28
	v_mul_lo_u32 v4, v0, s30
	s_andn2_b64 vcc, exec, s[60:61]
	v_mul_lo_u32 v0, v0, s29
	s_cbranch_vccnz .LBB8_98
; %bb.97:
	v_mul_hi_u32 v3, s25, v1
	v_add_u32_e32 v3, v1, v3
	v_lshrrev_b32_e32 v3, s26, v3
	v_mul_lo_u32 v3, v3, s24
	v_sub_u32_e32 v5, v1, v3
	v_mad_u64_u32 v[2:3], s[0:1], v5, s31, v[2:3]
	v_mad_u64_u32 v[0:1], s[0:1], v5, s34, v[0:1]
	v_mad_u64_u32 v[4:5], s[0:1], v5, s35, v[4:5]
.LBB8_98:
	global_load_dwordx2 v[4:5], v4, s[8:9]
	v_mov_b64_e32 v[6:7], 0
	s_waitcnt vmcnt(0)
	v_cmp_lt_i64_e32 vcc, s[10:11], v[4:5]
	s_and_saveexec_b64 s[2:3], vcc
	s_cbranch_execz .LBB8_104
; %bb.99:
	v_mov_b32_e32 v1, s11
	v_subrev_co_u32_e32 v8, vcc, s10, v4
	v_mov_b32_e32 v10, 0
	s_nop 0
	v_subb_co_u32_e32 v9, vcc, v5, v1, vcc
	v_or_b32_e32 v11, s13, v9
	v_cmp_ne_u64_e32 vcc, 0, v[10:11]
                                        ; implicit-def: $vgpr6_vgpr7
	s_and_saveexec_b64 s[0:1], vcc
	s_xor_b64 s[8:9], exec, s[0:1]
	s_cbranch_execz .LBB8_101
; %bb.100:
	s_ashr_i32 s20, s13, 31
	s_add_u32 s0, s12, s20
	s_mov_b32 s21, s20
	s_addc_u32 s1, s13, s20
	s_xor_b64 s[22:23], s[0:1], s[20:21]
	v_cvt_f32_u32_e32 v1, s22
	v_cvt_f32_u32_e32 v3, s23
	s_sub_u32 s21, 0, s22
	s_subb_u32 s24, 0, s23
	v_ashrrev_i32_e32 v6, 31, v9
	v_fmamk_f32 v1, v3, 0x4f800000, v1
	v_rcp_f32_e32 v1, v1
	v_mov_b32_e32 v7, v6
	v_lshl_add_u64 v[8:9], v[8:9], 0, v[6:7]
	v_mov_b32_e32 v13, v10
	v_mul_f32_e32 v1, 0x5f7ffffc, v1
	v_mul_f32_e32 v3, 0x2f800000, v1
	v_trunc_f32_e32 v3, v3
	v_fmamk_f32 v1, v3, 0xcf800000, v1
	v_cvt_u32_f32_e32 v3, v3
	v_cvt_u32_f32_e32 v1, v1
	v_readfirstlane_b32 s25, v3
	v_readfirstlane_b32 s0, v1
	s_mul_i32 s1, s21, s25
	s_mul_hi_u32 s27, s21, s0
	s_mul_i32 s26, s24, s0
	s_add_i32 s1, s27, s1
	s_add_i32 s1, s1, s26
	s_mul_i32 s28, s21, s0
	s_mul_i32 s27, s0, s1
	s_mul_hi_u32 s29, s0, s28
	s_mul_hi_u32 s26, s0, s1
	s_add_u32 s27, s29, s27
	s_addc_u32 s26, 0, s26
	s_mul_hi_u32 s30, s25, s28
	s_mul_i32 s28, s25, s28
	s_add_u32 s27, s27, s28
	s_mul_hi_u32 s29, s25, s1
	s_addc_u32 s26, s26, s30
	s_addc_u32 s27, s29, 0
	s_mul_i32 s1, s25, s1
	s_add_u32 s1, s26, s1
	s_addc_u32 s26, 0, s27
	s_add_u32 s27, s0, s1
	s_cselect_b64 s[0:1], -1, 0
	s_cmp_lg_u64 s[0:1], 0
	s_addc_u32 s25, s25, s26
	s_mul_i32 s0, s21, s25
	s_mul_hi_u32 s1, s21, s27
	s_add_i32 s0, s1, s0
	s_mul_i32 s24, s24, s27
	s_add_i32 s0, s0, s24
	s_mul_i32 s21, s21, s27
	s_mul_hi_u32 s24, s25, s21
	s_mul_i32 s26, s25, s21
	s_mul_i32 s29, s27, s0
	s_mul_hi_u32 s21, s27, s21
	s_mul_hi_u32 s28, s27, s0
	s_add_u32 s21, s21, s29
	s_addc_u32 s28, 0, s28
	s_add_u32 s21, s21, s26
	s_mul_hi_u32 s1, s25, s0
	s_addc_u32 s21, s28, s24
	s_addc_u32 s1, s1, 0
	s_mul_i32 s0, s25, s0
	s_add_u32 s0, s21, s0
	s_addc_u32 s21, 0, s1
	s_add_u32 s24, s27, s0
	s_cselect_b64 s[0:1], -1, 0
	s_cmp_lg_u64 s[0:1], 0
	s_addc_u32 s21, s25, s21
	v_xor_b32_e32 v3, v8, v6
	v_xor_b32_e32 v1, v9, v6
	v_mad_u64_u32 v[8:9], s[0:1], v3, s21, 0
	v_mul_hi_u32 v12, v3, s24
	v_lshl_add_u64 v[8:9], v[12:13], 0, v[8:9]
	v_mad_u64_u32 v[14:15], s[0:1], v1, s24, 0
	v_add_co_u32_e32 v7, vcc, v8, v14
	v_mad_u64_u32 v[12:13], s[0:1], v1, s21, 0
	s_nop 0
	v_addc_co_u32_e32 v8, vcc, v9, v15, vcc
	v_mov_b32_e32 v9, v10
	s_nop 0
	v_addc_co_u32_e32 v13, vcc, 0, v13, vcc
	v_lshl_add_u64 v[8:9], v[8:9], 0, v[12:13]
	v_mul_lo_u32 v7, s23, v8
	v_mul_lo_u32 v12, s22, v9
	v_mad_u64_u32 v[10:11], s[0:1], s22, v8, 0
	v_add3_u32 v7, v11, v12, v7
	v_sub_u32_e32 v11, v1, v7
	v_mov_b32_e32 v12, s23
	v_sub_co_u32_e32 v3, vcc, v3, v10
	s_nop 1
	v_subb_co_u32_e64 v10, s[0:1], v11, v12, vcc
	v_subrev_co_u32_e64 v11, s[0:1], s22, v3
	v_subb_co_u32_e32 v1, vcc, v1, v7, vcc
	s_nop 0
	v_subbrev_co_u32_e64 v10, s[0:1], 0, v10, s[0:1]
	v_cmp_le_u32_e64 s[0:1], s23, v10
	v_cmp_le_u32_e32 vcc, s23, v1
	s_nop 0
	v_cndmask_b32_e64 v12, 0, -1, s[0:1]
	v_cmp_le_u32_e64 s[0:1], s22, v11
	v_cndmask_b32_e64 v7, 0, -1, vcc
	v_cmp_le_u32_e32 vcc, s22, v3
	v_cndmask_b32_e64 v11, 0, -1, s[0:1]
	v_cmp_eq_u32_e64 s[0:1], s23, v10
	v_cndmask_b32_e64 v3, 0, -1, vcc
	v_cmp_eq_u32_e32 vcc, s23, v1
	v_cndmask_b32_e64 v14, v12, v11, s[0:1]
	v_lshl_add_u64 v[10:11], v[8:9], 0, 2
	v_lshl_add_u64 v[12:13], v[8:9], 0, 1
	v_cmp_ne_u32_e64 s[0:1], 0, v14
	v_cndmask_b32_e32 v1, v7, v3, vcc
	v_cmp_ne_u32_e32 vcc, 0, v1
	v_cndmask_b32_e64 v3, v12, v10, s[0:1]
	v_cndmask_b32_e64 v11, v13, v11, s[0:1]
	v_cndmask_b32_e32 v3, v8, v3, vcc
	v_xor_b32_e32 v7, s20, v6
	v_cndmask_b32_e32 v1, v9, v11, vcc
	v_xor_b32_e32 v3, v3, v7
	v_xor_b32_e32 v1, v1, v7
	v_sub_co_u32_e32 v6, vcc, v3, v7
                                        ; implicit-def: $vgpr8
	s_nop 1
	v_subb_co_u32_e32 v7, vcc, v1, v7, vcc
.LBB8_101:
	s_andn2_saveexec_b64 s[0:1], s[8:9]
	s_cbranch_execz .LBB8_103
; %bb.102:
	v_cvt_f32_u32_e32 v1, s12
	s_sub_i32 s8, 0, s12
	v_rcp_iflag_f32_e32 v1, v1
	s_nop 0
	v_mul_f32_e32 v1, 0x4f7ffffe, v1
	v_cvt_u32_f32_e32 v1, v1
	v_mul_lo_u32 v3, s8, v1
	v_mul_hi_u32 v3, v1, v3
	v_add_u32_e32 v1, v1, v3
	v_mul_hi_u32 v1, v8, v1
	v_mul_lo_u32 v3, v1, s12
	v_sub_u32_e32 v3, v8, v3
	v_add_u32_e32 v6, 1, v1
	v_subrev_u32_e32 v7, s12, v3
	v_cmp_le_u32_e32 vcc, s12, v3
	s_nop 1
	v_cndmask_b32_e32 v3, v3, v7, vcc
	v_cndmask_b32_e32 v1, v1, v6, vcc
	v_add_u32_e32 v6, 1, v1
	v_cmp_le_u32_e32 vcc, s12, v3
	v_mov_b32_e32 v7, 0
	s_nop 0
	v_cndmask_b32_e32 v6, v1, v6, vcc
.LBB8_103:
	s_or_b64 exec, exec, s[0:1]
.LBB8_104:
	s_or_b64 exec, exec, s[2:3]
	v_or_b32_e32 v9, s13, v5
	v_mov_b32_e32 v8, 0
	v_cmp_ne_u64_e32 vcc, 0, v[8:9]
                                        ; implicit-def: $vgpr10_vgpr11
	s_and_saveexec_b64 s[0:1], vcc
	s_xor_b64 s[2:3], exec, s[0:1]
	s_cbranch_execz .LBB8_106
; %bb.105:
	s_ashr_i32 s8, s13, 31
	s_add_u32 s0, s12, s8
	s_mov_b32 s9, s8
	s_addc_u32 s1, s13, s8
	s_xor_b64 s[20:21], s[0:1], s[8:9]
	v_cvt_f32_u32_e32 v1, s20
	v_cvt_f32_u32_e32 v3, s21
	s_sub_u32 s9, 0, s20
	s_subb_u32 s22, 0, s21
	v_ashrrev_i32_e32 v10, 31, v5
	v_fmamk_f32 v1, v3, 0x4f800000, v1
	v_rcp_f32_e32 v1, v1
	v_mov_b32_e32 v11, v10
	v_lshl_add_u64 v[12:13], v[4:5], 0, v[10:11]
	v_mov_b32_e32 v15, v8
	v_mul_f32_e32 v1, 0x5f7ffffc, v1
	v_mul_f32_e32 v3, 0x2f800000, v1
	v_trunc_f32_e32 v3, v3
	v_fmamk_f32 v1, v3, 0xcf800000, v1
	v_cvt_u32_f32_e32 v3, v3
	v_cvt_u32_f32_e32 v1, v1
	v_readfirstlane_b32 s23, v3
	v_readfirstlane_b32 s0, v1
	s_mul_i32 s1, s9, s23
	s_mul_hi_u32 s25, s9, s0
	s_mul_i32 s24, s22, s0
	s_add_i32 s1, s25, s1
	s_add_i32 s1, s1, s24
	s_mul_i32 s26, s9, s0
	s_mul_i32 s25, s0, s1
	s_mul_hi_u32 s27, s0, s26
	s_mul_hi_u32 s24, s0, s1
	s_add_u32 s25, s27, s25
	s_addc_u32 s24, 0, s24
	s_mul_hi_u32 s28, s23, s26
	s_mul_i32 s26, s23, s26
	s_add_u32 s25, s25, s26
	s_mul_hi_u32 s27, s23, s1
	s_addc_u32 s24, s24, s28
	s_addc_u32 s25, s27, 0
	s_mul_i32 s1, s23, s1
	s_add_u32 s1, s24, s1
	s_addc_u32 s24, 0, s25
	s_add_u32 s25, s0, s1
	s_cselect_b64 s[0:1], -1, 0
	s_cmp_lg_u64 s[0:1], 0
	s_addc_u32 s23, s23, s24
	s_mul_i32 s0, s9, s23
	s_mul_hi_u32 s1, s9, s25
	s_add_i32 s0, s1, s0
	s_mul_i32 s22, s22, s25
	s_add_i32 s0, s0, s22
	s_mul_i32 s9, s9, s25
	s_mul_hi_u32 s22, s23, s9
	s_mul_i32 s24, s23, s9
	s_mul_i32 s27, s25, s0
	s_mul_hi_u32 s9, s25, s9
	s_mul_hi_u32 s26, s25, s0
	s_add_u32 s9, s9, s27
	s_addc_u32 s26, 0, s26
	s_add_u32 s9, s9, s24
	s_mul_hi_u32 s1, s23, s0
	s_addc_u32 s9, s26, s22
	s_addc_u32 s1, s1, 0
	s_mul_i32 s0, s23, s0
	s_add_u32 s0, s9, s0
	s_addc_u32 s9, 0, s1
	s_add_u32 s22, s25, s0
	s_cselect_b64 s[0:1], -1, 0
	s_cmp_lg_u64 s[0:1], 0
	s_addc_u32 s9, s23, s9
	v_xor_b32_e32 v3, v12, v10
	v_xor_b32_e32 v1, v13, v10
	v_mad_u64_u32 v[12:13], s[0:1], v3, s9, 0
	v_mul_hi_u32 v14, v3, s22
	v_lshl_add_u64 v[12:13], v[14:15], 0, v[12:13]
	v_mad_u64_u32 v[16:17], s[0:1], v1, s22, 0
	v_add_co_u32_e32 v9, vcc, v12, v16
	v_mad_u64_u32 v[14:15], s[0:1], v1, s9, 0
	s_nop 0
	v_addc_co_u32_e32 v12, vcc, v13, v17, vcc
	v_mov_b32_e32 v13, v8
	s_nop 0
	v_addc_co_u32_e32 v15, vcc, 0, v15, vcc
	v_lshl_add_u64 v[8:9], v[12:13], 0, v[14:15]
	v_mul_lo_u32 v11, s21, v8
	v_mul_lo_u32 v14, s20, v9
	v_mad_u64_u32 v[12:13], s[0:1], s20, v8, 0
	v_add3_u32 v11, v13, v14, v11
	v_sub_u32_e32 v13, v1, v11
	v_mov_b32_e32 v14, s21
	v_sub_co_u32_e32 v3, vcc, v3, v12
	s_nop 1
	v_subb_co_u32_e64 v12, s[0:1], v13, v14, vcc
	v_subrev_co_u32_e64 v13, s[0:1], s20, v3
	v_subb_co_u32_e32 v1, vcc, v1, v11, vcc
	s_nop 0
	v_subbrev_co_u32_e64 v12, s[0:1], 0, v12, s[0:1]
	v_cmp_le_u32_e64 s[0:1], s21, v12
	v_cmp_le_u32_e32 vcc, s21, v1
	s_nop 0
	v_cndmask_b32_e64 v14, 0, -1, s[0:1]
	v_cmp_le_u32_e64 s[0:1], s20, v13
	v_cndmask_b32_e64 v11, 0, -1, vcc
	v_cmp_le_u32_e32 vcc, s20, v3
	v_cndmask_b32_e64 v13, 0, -1, s[0:1]
	v_cmp_eq_u32_e64 s[0:1], s21, v12
	v_cndmask_b32_e64 v3, 0, -1, vcc
	v_cmp_eq_u32_e32 vcc, s21, v1
	v_cndmask_b32_e64 v16, v14, v13, s[0:1]
	v_lshl_add_u64 v[12:13], v[8:9], 0, 2
	v_lshl_add_u64 v[14:15], v[8:9], 0, 1
	v_cmp_ne_u32_e64 s[0:1], 0, v16
	v_cndmask_b32_e32 v1, v11, v3, vcc
	v_cmp_ne_u32_e32 vcc, 0, v1
	v_cndmask_b32_e64 v3, v14, v12, s[0:1]
	v_cndmask_b32_e64 v13, v15, v13, s[0:1]
	v_cndmask_b32_e32 v3, v8, v3, vcc
	v_xor_b32_e32 v8, s8, v10
	v_cndmask_b32_e32 v1, v9, v13, vcc
	v_xor_b32_e32 v3, v3, v8
	v_xor_b32_e32 v1, v1, v8
	v_sub_co_u32_e32 v10, vcc, v3, v8
	s_nop 1
	v_subb_co_u32_e32 v11, vcc, v1, v8, vcc
.LBB8_106:
	s_andn2_saveexec_b64 s[0:1], s[2:3]
	s_cbranch_execz .LBB8_108
; %bb.107:
	v_cvt_f32_u32_e32 v1, s12
	s_sub_i32 s2, 0, s12
	v_mov_b32_e32 v11, 0
	v_rcp_iflag_f32_e32 v1, v1
	s_nop 0
	v_mul_f32_e32 v1, 0x4f7ffffe, v1
	v_cvt_u32_f32_e32 v1, v1
	v_mul_lo_u32 v3, s2, v1
	v_mul_hi_u32 v3, v1, v3
	v_add_u32_e32 v1, v1, v3
	v_mul_hi_u32 v1, v4, v1
	v_mul_lo_u32 v3, v1, s12
	v_sub_u32_e32 v3, v4, v3
	v_add_u32_e32 v8, 1, v1
	v_subrev_u32_e32 v9, s12, v3
	v_cmp_le_u32_e32 vcc, s12, v3
	s_nop 1
	v_cndmask_b32_e32 v3, v3, v9, vcc
	v_cndmask_b32_e32 v1, v1, v8, vcc
	v_add_u32_e32 v8, 1, v1
	v_cmp_le_u32_e32 vcc, s12, v3
	s_nop 1
	v_cndmask_b32_e32 v10, v1, v8, vcc
.LBB8_108:
	s_or_b64 exec, exec, s[0:1]
	v_mul_lo_u32 v1, v7, s12
	v_mul_lo_u32 v3, v6, s13
	v_mad_u64_u32 v[8:9], s[0:1], v6, s12, 0
	v_add3_u32 v9, v9, v3, v1
	v_cmp_gt_i64_e32 vcc, v[8:9], v[4:5]
	v_mov_b64_e32 v[8:9], s[10:11]
	v_mad_u64_u32 v[8:9], s[0:1], v6, s12, v[8:9]
	v_add3_u32 v9, v1, v9, v3
	v_cmp_ge_i64_e64 s[0:1], v[4:5], v[8:9]
	s_or_b64 s[0:1], vcc, s[0:1]
	v_mov_b32_e32 v1, s15
	v_cndmask_b32_e64 v8, 0, 1, s[0:1]
	s_mov_b32 s0, 0
	v_mov_b32_e32 v9, s0
	v_cmp_gt_i64_e32 vcc, s[14:15], v[10:11]
	v_lshl_add_u64 v[12:13], v[6:7], 0, v[8:9]
	s_nop 0
	v_cndmask_b32_e32 v7, v1, v11, vcc
	v_mov_b32_e32 v1, s14
	v_cndmask_b32_e32 v6, v1, v10, vcc
	v_cmp_le_i64_e32 vcc, v[12:13], v[6:7]
	s_and_b64 exec, exec, vcc
	s_cbranch_execz .LBB8_111
; %bb.109:
	global_load_dwordx2 v[8:9], v2, s[4:5]
	v_mul_lo_u32 v16, s13, v12
	v_mul_lo_u32 v17, s12, v13
	v_mad_u64_u32 v[14:15], s[0:1], s12, v12, 0
	v_add3_u32 v15, v15, v17, v16
	v_sub_co_u32_e32 v4, vcc, v4, v14
	v_mov_b32_e32 v3, 0
	s_nop 0
	v_subb_co_u32_e32 v5, vcc, v5, v15, vcc
	v_mul_lo_u32 v14, s19, v4
	v_mul_lo_u32 v15, s18, v5
	v_mad_u64_u32 v[4:5], s[0:1], s18, v4, 0
	v_lshl_add_u64 v[10:11], s[4:5], 0, v[2:3]
	v_mov_b32_e32 v1, v3
	v_lshl_add_u64 v[2:3], v[12:13], 0, -1
	v_add3_u32 v5, v5, v15, v14
	v_mul_lo_u32 v14, s17, v12
	v_mul_lo_u32 v15, s16, v13
	v_mad_u64_u32 v[12:13], s[0:1], s16, v12, 0
	s_mul_i32 s2, s12, s19
	s_mul_hi_u32 s3, s12, s18
	v_add3_u32 v13, v13, v15, v14
	s_add_i32 s2, s3, s2
	s_mul_i32 s3, s13, s18
	v_lshlrev_b64 v[12:13], 3, v[12:13]
	s_add_i32 s3, s2, s3
	s_mul_i32 s2, s12, s18
	v_lshl_add_u64 v[4:5], v[4:5], 3, v[12:13]
	s_lshl_b64 s[0:1], s[16:17], 3
	s_lshl_b64 s[2:3], s[2:3], 3
	v_lshl_add_u64 v[0:1], v[4:5], 0, v[0:1]
	s_sub_u32 s0, s0, s2
	v_lshl_add_u64 v[0:1], s[6:7], 0, v[0:1]
	s_subb_u32 s1, s1, s3
	s_mov_b64 s[2:3], 0
.LBB8_110:                              ; =>This Inner Loop Header: Depth=1
	global_load_dwordx2 v[4:5], v[0:1], off
	v_lshl_add_u64 v[2:3], v[2:3], 0, 1
	v_cmp_ge_i64_e32 vcc, v[2:3], v[6:7]
	v_lshl_add_u64 v[0:1], v[0:1], 0, s[0:1]
	s_or_b64 s[2:3], vcc, s[2:3]
	s_waitcnt vmcnt(0)
	v_pk_add_f32 v[8:9], v[8:9], v[4:5]
	global_store_dwordx2 v[10:11], v[8:9], off
	s_andn2_b64 exec, exec, s[2:3]
	s_cbranch_execnz .LBB8_110
.LBB8_111:
	s_endpgm
	.section	.rodata,"a",@progbits
	.p2align	6, 0x0
	.amdhsa_kernel _ZN2at6native12_GLOBAL__N_135_unfold_backward_elementwise_kernelILi256ELi4EZNS1_32_unfold_backward_internal_kernelIN3c107complexIfEEEEvRNS_14TensorIteratorEllllllEUliE_EEviT1_
		.amdhsa_group_segment_fixed_size 0
		.amdhsa_private_segment_fixed_size 0
		.amdhsa_kernarg_size 464
		.amdhsa_user_sgpr_count 2
		.amdhsa_user_sgpr_dispatch_ptr 0
		.amdhsa_user_sgpr_queue_ptr 0
		.amdhsa_user_sgpr_kernarg_segment_ptr 1
		.amdhsa_user_sgpr_dispatch_id 0
		.amdhsa_user_sgpr_kernarg_preload_length 0
		.amdhsa_user_sgpr_kernarg_preload_offset 0
		.amdhsa_user_sgpr_private_segment_size 0
		.amdhsa_uses_dynamic_stack 0
		.amdhsa_enable_private_segment 0
		.amdhsa_system_sgpr_workgroup_id_x 1
		.amdhsa_system_sgpr_workgroup_id_y 0
		.amdhsa_system_sgpr_workgroup_id_z 0
		.amdhsa_system_sgpr_workgroup_info 0
		.amdhsa_system_vgpr_workitem_id 0
		.amdhsa_next_free_vgpr 20
		.amdhsa_next_free_sgpr 73
		.amdhsa_accum_offset 20
		.amdhsa_reserve_vcc 1
		.amdhsa_float_round_mode_32 0
		.amdhsa_float_round_mode_16_64 0
		.amdhsa_float_denorm_mode_32 3
		.amdhsa_float_denorm_mode_16_64 3
		.amdhsa_dx10_clamp 1
		.amdhsa_ieee_mode 1
		.amdhsa_fp16_overflow 0
		.amdhsa_tg_split 0
		.amdhsa_exception_fp_ieee_invalid_op 0
		.amdhsa_exception_fp_denorm_src 0
		.amdhsa_exception_fp_ieee_div_zero 0
		.amdhsa_exception_fp_ieee_overflow 0
		.amdhsa_exception_fp_ieee_underflow 0
		.amdhsa_exception_fp_ieee_inexact 0
		.amdhsa_exception_int_div_zero 0
	.end_amdhsa_kernel
	.section	.text._ZN2at6native12_GLOBAL__N_135_unfold_backward_elementwise_kernelILi256ELi4EZNS1_32_unfold_backward_internal_kernelIN3c107complexIfEEEEvRNS_14TensorIteratorEllllllEUliE_EEviT1_,"axG",@progbits,_ZN2at6native12_GLOBAL__N_135_unfold_backward_elementwise_kernelILi256ELi4EZNS1_32_unfold_backward_internal_kernelIN3c107complexIfEEEEvRNS_14TensorIteratorEllllllEUliE_EEviT1_,comdat
.Lfunc_end8:
	.size	_ZN2at6native12_GLOBAL__N_135_unfold_backward_elementwise_kernelILi256ELi4EZNS1_32_unfold_backward_internal_kernelIN3c107complexIfEEEEvRNS_14TensorIteratorEllllllEUliE_EEviT1_, .Lfunc_end8-_ZN2at6native12_GLOBAL__N_135_unfold_backward_elementwise_kernelILi256ELi4EZNS1_32_unfold_backward_internal_kernelIN3c107complexIfEEEEvRNS_14TensorIteratorEllllllEUliE_EEviT1_
                                        ; -- End function
	.set _ZN2at6native12_GLOBAL__N_135_unfold_backward_elementwise_kernelILi256ELi4EZNS1_32_unfold_backward_internal_kernelIN3c107complexIfEEEEvRNS_14TensorIteratorEllllllEUliE_EEviT1_.num_vgpr, 20
	.set _ZN2at6native12_GLOBAL__N_135_unfold_backward_elementwise_kernelILi256ELi4EZNS1_32_unfold_backward_internal_kernelIN3c107complexIfEEEEvRNS_14TensorIteratorEllllllEUliE_EEviT1_.num_agpr, 0
	.set _ZN2at6native12_GLOBAL__N_135_unfold_backward_elementwise_kernelILi256ELi4EZNS1_32_unfold_backward_internal_kernelIN3c107complexIfEEEEvRNS_14TensorIteratorEllllllEUliE_EEviT1_.numbered_sgpr, 73
	.set _ZN2at6native12_GLOBAL__N_135_unfold_backward_elementwise_kernelILi256ELi4EZNS1_32_unfold_backward_internal_kernelIN3c107complexIfEEEEvRNS_14TensorIteratorEllllllEUliE_EEviT1_.num_named_barrier, 0
	.set _ZN2at6native12_GLOBAL__N_135_unfold_backward_elementwise_kernelILi256ELi4EZNS1_32_unfold_backward_internal_kernelIN3c107complexIfEEEEvRNS_14TensorIteratorEllllllEUliE_EEviT1_.private_seg_size, 0
	.set _ZN2at6native12_GLOBAL__N_135_unfold_backward_elementwise_kernelILi256ELi4EZNS1_32_unfold_backward_internal_kernelIN3c107complexIfEEEEvRNS_14TensorIteratorEllllllEUliE_EEviT1_.uses_vcc, 1
	.set _ZN2at6native12_GLOBAL__N_135_unfold_backward_elementwise_kernelILi256ELi4EZNS1_32_unfold_backward_internal_kernelIN3c107complexIfEEEEvRNS_14TensorIteratorEllllllEUliE_EEviT1_.uses_flat_scratch, 0
	.set _ZN2at6native12_GLOBAL__N_135_unfold_backward_elementwise_kernelILi256ELi4EZNS1_32_unfold_backward_internal_kernelIN3c107complexIfEEEEvRNS_14TensorIteratorEllllllEUliE_EEviT1_.has_dyn_sized_stack, 0
	.set _ZN2at6native12_GLOBAL__N_135_unfold_backward_elementwise_kernelILi256ELi4EZNS1_32_unfold_backward_internal_kernelIN3c107complexIfEEEEvRNS_14TensorIteratorEllllllEUliE_EEviT1_.has_recursion, 0
	.set _ZN2at6native12_GLOBAL__N_135_unfold_backward_elementwise_kernelILi256ELi4EZNS1_32_unfold_backward_internal_kernelIN3c107complexIfEEEEvRNS_14TensorIteratorEllllllEUliE_EEviT1_.has_indirect_call, 0
	.section	.AMDGPU.csdata,"",@progbits
; Kernel info:
; codeLenInByte = 11044
; TotalNumSgprs: 79
; NumVgprs: 20
; NumAgprs: 0
; TotalNumVgprs: 20
; ScratchSize: 0
; MemoryBound: 0
; FloatMode: 240
; IeeeMode: 1
; LDSByteSize: 0 bytes/workgroup (compile time only)
; SGPRBlocks: 9
; VGPRBlocks: 2
; NumSGPRsForWavesPerEU: 79
; NumVGPRsForWavesPerEU: 20
; AccumOffset: 20
; Occupancy: 8
; WaveLimiterHint : 1
; COMPUTE_PGM_RSRC2:SCRATCH_EN: 0
; COMPUTE_PGM_RSRC2:USER_SGPR: 2
; COMPUTE_PGM_RSRC2:TRAP_HANDLER: 0
; COMPUTE_PGM_RSRC2:TGID_X_EN: 1
; COMPUTE_PGM_RSRC2:TGID_Y_EN: 0
; COMPUTE_PGM_RSRC2:TGID_Z_EN: 0
; COMPUTE_PGM_RSRC2:TIDIG_COMP_CNT: 0
; COMPUTE_PGM_RSRC3_GFX90A:ACCUM_OFFSET: 4
; COMPUTE_PGM_RSRC3_GFX90A:TG_SPLIT: 0
	.section	.text._ZN2at6native12_GLOBAL__N_135_unfold_backward_elementwise_kernelILi256ELi4EZNS1_32_unfold_backward_internal_kernelIN3c104HalfEEEvRNS_14TensorIteratorEllllllEUliE_EEviT1_,"axG",@progbits,_ZN2at6native12_GLOBAL__N_135_unfold_backward_elementwise_kernelILi256ELi4EZNS1_32_unfold_backward_internal_kernelIN3c104HalfEEEvRNS_14TensorIteratorEllllllEUliE_EEviT1_,comdat
	.globl	_ZN2at6native12_GLOBAL__N_135_unfold_backward_elementwise_kernelILi256ELi4EZNS1_32_unfold_backward_internal_kernelIN3c104HalfEEEvRNS_14TensorIteratorEllllllEUliE_EEviT1_ ; -- Begin function _ZN2at6native12_GLOBAL__N_135_unfold_backward_elementwise_kernelILi256ELi4EZNS1_32_unfold_backward_internal_kernelIN3c104HalfEEEvRNS_14TensorIteratorEllllllEUliE_EEviT1_
	.p2align	8
	.type	_ZN2at6native12_GLOBAL__N_135_unfold_backward_elementwise_kernelILi256ELi4EZNS1_32_unfold_backward_internal_kernelIN3c104HalfEEEvRNS_14TensorIteratorEllllllEUliE_EEviT1_,@function
_ZN2at6native12_GLOBAL__N_135_unfold_backward_elementwise_kernelILi256ELi4EZNS1_32_unfold_backward_internal_kernelIN3c104HalfEEEvRNS_14TensorIteratorEllllllEUliE_EEviT1_: ; @_ZN2at6native12_GLOBAL__N_135_unfold_backward_elementwise_kernelILi256ELi4EZNS1_32_unfold_backward_internal_kernelIN3c104HalfEEEvRNS_14TensorIteratorEllllllEUliE_EEviT1_
; %bb.0:
	s_load_dword s70, s[0:1], 0x0
	s_load_dwordx8 s[20:27], s[0:1], 0x8
	v_lshl_or_b32 v14, s2, 10, v0
	s_waitcnt lgkmcnt(0)
	s_add_u32 s27, s0, 8
	s_load_dwordx16 s[4:19], s[0:1], 0x190
	s_load_dwordx4 s[28:31], s[0:1], 0xcc
	s_load_dwordx2 s[34:35], s[0:1], 0xdc
	s_addc_u32 s33, s1, 0
	v_sub_co_u32_e64 v0, s[2:3], s20, 1
	s_nop 0
	v_readfirstlane_b32 s68, v0
	s_xor_b64 s[64:65], s[2:3], -1
	s_or_b32 s62, s0, 12
	s_min_u32 s69, s68, 15
	s_mov_b32 s63, s1
	s_cmp_gt_u32 s20, 1
	v_cmp_lt_u32_e64 s[0:1], 1, v0
	s_cselect_b64 s[60:61], -1, 0
	s_waitcnt lgkmcnt(0)
	s_add_u32 s14, s14, -1
	v_cndmask_b32_e64 v0, 0, 1, s[0:1]
	s_mov_b64 s[2:3], -1
	s_addc_u32 s15, s15, -1
	v_cmp_gt_i32_e32 vcc, s70, v14
	v_cmp_ne_u32_e64 s[0:1], 1, v0
	s_and_saveexec_b64 s[66:67], vcc
	s_cbranch_execnz .LBB9_4
; %bb.1:
	s_or_b64 exec, exec, s[66:67]
	v_cmp_gt_i32_e32 vcc, s70, v14
	s_and_saveexec_b64 s[66:67], vcc
	s_cbranch_execnz .LBB9_31
.LBB9_2:
	s_or_b64 exec, exec, s[66:67]
	v_cmp_gt_i32_e32 vcc, s70, v14
	s_and_saveexec_b64 s[66:67], vcc
	s_cbranch_execnz .LBB9_58
.LBB9_3:
	s_or_b64 exec, exec, s[66:67]
	v_cmp_gt_i32_e32 vcc, s70, v14
	s_and_saveexec_b64 s[2:3], vcc
	s_cbranch_execnz .LBB9_85
	s_branch .LBB9_111
.LBB9_4:
	s_and_b64 vcc, exec, s[0:1]
                                        ; implicit-def: $vgpr4
                                        ; implicit-def: $vgpr0
                                        ; implicit-def: $vgpr2
	s_cbranch_vccnz .LBB9_14
; %bb.5:
	v_mov_b32_e32 v4, 0
	s_andn2_b64 vcc, exec, s[64:65]
	v_mov_b32_e32 v0, 0
	v_mov_b32_e32 v2, 0
	s_cbranch_vccnz .LBB9_13
; %bb.6:
	s_add_i32 s71, s69, 1
	s_cmp_eq_u32 s68, 2
	s_cbranch_scc1 .LBB9_10
; %bb.7:
	s_and_b32 s20, s71, 28
	v_mov_b32_e32 v2, 0
	s_mov_b32 s72, 0
	s_mov_b64 s[2:3], s[62:63]
	v_mov_b32_e32 v6, v14
	v_mov_b32_e32 v0, 0
	;; [unrolled: 1-line block ×3, first 2 shown]
.LBB9_8:                                ; =>This Inner Loop Header: Depth=1
	s_load_dwordx8 s[36:43], s[2:3], 0x0
	s_load_dwordx4 s[52:55], s[2:3], 0x20
	s_load_dwordx4 s[56:59], s[2:3], 0xe0
	s_load_dwordx8 s[44:51], s[2:3], 0xc0
	s_add_i32 s72, s72, 4
	s_waitcnt lgkmcnt(0)
	v_mul_hi_u32 v1, s37, v6
	v_add_u32_e32 v1, v6, v1
	v_lshrrev_b32_e32 v1, s38, v1
	v_mul_hi_u32 v5, s40, v1
	v_add_u32_e32 v5, v1, v5
	v_lshrrev_b32_e32 v5, s41, v5
	v_mul_lo_u32 v3, v1, s36
	v_mul_lo_u32 v8, v5, s39
	v_mul_hi_u32 v9, s43, v5
	v_sub_u32_e32 v3, v6, v3
	v_sub_u32_e32 v1, v1, v8
	v_add_u32_e32 v8, v5, v9
	v_mul_lo_u32 v6, v3, s44
	v_mul_lo_u32 v7, v3, s46
	;; [unrolled: 1-line block ×6, first 2 shown]
	v_lshrrev_b32_e32 v8, s52, v8
	v_add3_u32 v0, v3, v0, v1
	v_add3_u32 v1, v7, v4, v10
	v_mul_hi_u32 v4, s54, v8
	v_add_u32_e32 v4, v8, v4
	v_add3_u32 v2, v6, v2, v9
	v_lshrrev_b32_e32 v6, s55, v4
	v_mul_lo_u32 v3, v8, s42
	v_mul_lo_u32 v4, v6, s53
	s_add_u32 s2, s2, 48
	v_sub_u32_e32 v3, v5, v3
	v_sub_u32_e32 v4, v8, v4
	s_addc_u32 s3, s3, 0
	v_mul_lo_u32 v5, v3, s50
	v_mul_lo_u32 v7, v3, s51
	;; [unrolled: 1-line block ×6, first 2 shown]
	s_cmp_lg_u32 s20, s72
	v_add3_u32 v2, v5, v2, v8
	v_add3_u32 v4, v3, v1, v4
	;; [unrolled: 1-line block ×3, first 2 shown]
	s_cbranch_scc1 .LBB9_8
; %bb.9:
	v_mov_b32_e32 v1, v4
	s_and_b32 s36, s71, 3
	s_cmp_eq_u32 s36, 0
	s_cbranch_scc0 .LBB9_11
	s_branch .LBB9_13
.LBB9_10:
	v_mov_b32_e32 v0, 0
	s_mov_b32 s20, 0
	v_mov_b32_e32 v1, v0
                                        ; implicit-def: $vgpr4
	v_mov_b32_e32 v6, v14
	v_mov_b32_e32 v2, v0
	s_and_b32 s36, s71, 3
	s_cmp_eq_u32 s36, 0
	s_cbranch_scc1 .LBB9_13
.LBB9_11:
	s_mul_i32 s2, s20, 12
	s_add_u32 s2, s27, s2
	s_addc_u32 s3, s33, 0
	s_add_u32 s2, s2, 4
	s_addc_u32 s3, s3, 0
.LBB9_12:                               ; =>This Inner Loop Header: Depth=1
	s_load_dwordx2 s[38:39], s[2:3], 0x0
	s_load_dword s20, s[2:3], 0x8
	s_load_dwordx2 s[40:41], s[2:3], 0xc0
	s_load_dword s37, s[2:3], 0xc8
	v_mov_b32_e32 v4, v1
	s_waitcnt lgkmcnt(0)
	v_mul_hi_u32 v1, s39, v6
	v_add_u32_e32 v1, v6, v1
	v_lshrrev_b32_e32 v1, s20, v1
	v_mul_lo_u32 v3, v1, s38
	s_add_u32 s2, s2, 12
	v_sub_u32_e32 v7, v6, v3
	s_addc_u32 s3, s3, 0
	s_add_i32 s36, s36, -1
	v_mov_b32_e32 v6, v1
	v_mad_u64_u32 v[4:5], s[38:39], v7, s37, v[4:5]
	v_mad_u64_u32 v[0:1], s[38:39], v7, s41, v[0:1]
	s_cmp_lg_u32 s36, 0
	v_mad_u64_u32 v[2:3], s[38:39], v7, s40, v[2:3]
	v_mov_b32_e32 v1, v4
	s_cbranch_scc1 .LBB9_12
.LBB9_13:
	s_mov_b64 s[2:3], 0
.LBB9_14:
	s_andn2_b64 vcc, exec, s[2:3]
	s_cbranch_vccnz .LBB9_17
; %bb.15:
	v_mul_hi_u32 v0, s22, v14
	v_add_u32_e32 v0, v14, v0
	v_lshrrev_b32_e32 v1, s23, v0
	v_mul_lo_u32 v0, v1, s21
	v_sub_u32_e32 v0, v14, v0
	v_mul_lo_u32 v2, v0, s28
	v_mul_lo_u32 v4, v0, s30
	s_andn2_b64 vcc, exec, s[60:61]
	v_mul_lo_u32 v0, v0, s29
	s_cbranch_vccnz .LBB9_17
; %bb.16:
	v_mul_hi_u32 v3, s25, v1
	v_add_u32_e32 v3, v1, v3
	v_lshrrev_b32_e32 v3, s26, v3
	v_mul_lo_u32 v3, v3, s24
	v_sub_u32_e32 v5, v1, v3
	v_mad_u64_u32 v[2:3], s[2:3], v5, s31, v[2:3]
	v_mad_u64_u32 v[0:1], s[2:3], v5, s34, v[0:1]
	;; [unrolled: 1-line block ×3, first 2 shown]
.LBB9_17:
	global_load_dwordx2 v[4:5], v4, s[8:9]
	v_mov_b64_e32 v[6:7], 0
	s_waitcnt vmcnt(0)
	v_cmp_lt_i64_e32 vcc, s[10:11], v[4:5]
	s_and_saveexec_b64 s[36:37], vcc
	s_cbranch_execz .LBB9_23
; %bb.18:
	v_mov_b32_e32 v1, s11
	v_subrev_co_u32_e32 v8, vcc, s10, v4
	v_mov_b32_e32 v10, 0
	s_nop 0
	v_subb_co_u32_e32 v9, vcc, v5, v1, vcc
	v_or_b32_e32 v11, s13, v9
	v_cmp_ne_u64_e32 vcc, 0, v[10:11]
                                        ; implicit-def: $vgpr6_vgpr7
	s_and_saveexec_b64 s[2:3], vcc
	s_xor_b64 s[38:39], exec, s[2:3]
	s_cbranch_execz .LBB9_20
; %bb.19:
	s_ashr_i32 s40, s13, 31
	s_add_u32 s2, s12, s40
	s_mov_b32 s41, s40
	s_addc_u32 s3, s13, s40
	s_xor_b64 s[42:43], s[2:3], s[40:41]
	v_cvt_f32_u32_e32 v1, s42
	v_cvt_f32_u32_e32 v3, s43
	s_sub_u32 s20, 0, s42
	s_subb_u32 s41, 0, s43
	v_ashrrev_i32_e32 v6, 31, v9
	v_fmamk_f32 v1, v3, 0x4f800000, v1
	v_rcp_f32_e32 v1, v1
	v_mov_b32_e32 v7, v6
	v_lshl_add_u64 v[8:9], v[8:9], 0, v[6:7]
	v_mov_b32_e32 v13, v10
	v_mul_f32_e32 v1, 0x5f7ffffc, v1
	v_mul_f32_e32 v3, 0x2f800000, v1
	v_trunc_f32_e32 v3, v3
	v_fmamk_f32 v1, v3, 0xcf800000, v1
	v_cvt_u32_f32_e32 v3, v3
	v_cvt_u32_f32_e32 v1, v1
	v_readfirstlane_b32 s44, v3
	v_readfirstlane_b32 s2, v1
	s_mul_i32 s3, s20, s44
	s_mul_hi_u32 s46, s20, s2
	s_mul_i32 s45, s41, s2
	s_add_i32 s3, s46, s3
	s_add_i32 s3, s3, s45
	s_mul_i32 s47, s20, s2
	s_mul_i32 s46, s2, s3
	s_mul_hi_u32 s48, s2, s47
	s_mul_hi_u32 s45, s2, s3
	s_add_u32 s46, s48, s46
	s_addc_u32 s45, 0, s45
	s_mul_hi_u32 s49, s44, s47
	s_mul_i32 s47, s44, s47
	s_add_u32 s46, s46, s47
	s_mul_hi_u32 s48, s44, s3
	s_addc_u32 s45, s45, s49
	s_addc_u32 s46, s48, 0
	s_mul_i32 s3, s44, s3
	s_add_u32 s3, s45, s3
	s_addc_u32 s45, 0, s46
	s_add_u32 s46, s2, s3
	s_cselect_b64 s[2:3], -1, 0
	s_cmp_lg_u64 s[2:3], 0
	s_addc_u32 s44, s44, s45
	s_mul_i32 s2, s20, s44
	s_mul_hi_u32 s3, s20, s46
	s_add_i32 s2, s3, s2
	s_mul_i32 s41, s41, s46
	s_add_i32 s2, s2, s41
	s_mul_i32 s20, s20, s46
	s_mul_hi_u32 s41, s44, s20
	s_mul_i32 s45, s44, s20
	s_mul_i32 s48, s46, s2
	s_mul_hi_u32 s20, s46, s20
	s_mul_hi_u32 s47, s46, s2
	s_add_u32 s20, s20, s48
	s_addc_u32 s47, 0, s47
	s_add_u32 s20, s20, s45
	s_mul_hi_u32 s3, s44, s2
	s_addc_u32 s20, s47, s41
	s_addc_u32 s3, s3, 0
	s_mul_i32 s2, s44, s2
	s_add_u32 s2, s20, s2
	s_addc_u32 s20, 0, s3
	s_add_u32 s41, s46, s2
	s_cselect_b64 s[2:3], -1, 0
	s_cmp_lg_u64 s[2:3], 0
	s_addc_u32 s20, s44, s20
	v_xor_b32_e32 v3, v8, v6
	v_xor_b32_e32 v1, v9, v6
	v_mad_u64_u32 v[8:9], s[2:3], v3, s20, 0
	v_mul_hi_u32 v12, v3, s41
	v_lshl_add_u64 v[8:9], v[12:13], 0, v[8:9]
	v_mad_u64_u32 v[16:17], s[2:3], v1, s41, 0
	v_add_co_u32_e32 v7, vcc, v8, v16
	v_mad_u64_u32 v[12:13], s[2:3], v1, s20, 0
	s_nop 0
	v_addc_co_u32_e32 v8, vcc, v9, v17, vcc
	v_mov_b32_e32 v9, v10
	s_nop 0
	v_addc_co_u32_e32 v13, vcc, 0, v13, vcc
	v_lshl_add_u64 v[8:9], v[8:9], 0, v[12:13]
	v_mul_lo_u32 v7, s43, v8
	v_mul_lo_u32 v12, s42, v9
	v_mad_u64_u32 v[10:11], s[2:3], s42, v8, 0
	v_add3_u32 v7, v11, v12, v7
	v_sub_u32_e32 v11, v1, v7
	v_mov_b32_e32 v12, s43
	v_sub_co_u32_e32 v3, vcc, v3, v10
	s_nop 1
	v_subb_co_u32_e64 v10, s[2:3], v11, v12, vcc
	v_subrev_co_u32_e64 v11, s[2:3], s42, v3
	v_subb_co_u32_e32 v1, vcc, v1, v7, vcc
	s_nop 0
	v_subbrev_co_u32_e64 v10, s[2:3], 0, v10, s[2:3]
	v_cmp_le_u32_e64 s[2:3], s43, v10
	v_cmp_le_u32_e32 vcc, s43, v1
	s_nop 0
	v_cndmask_b32_e64 v12, 0, -1, s[2:3]
	v_cmp_le_u32_e64 s[2:3], s42, v11
	v_cndmask_b32_e64 v7, 0, -1, vcc
	v_cmp_le_u32_e32 vcc, s42, v3
	v_cndmask_b32_e64 v11, 0, -1, s[2:3]
	v_cmp_eq_u32_e64 s[2:3], s43, v10
	v_cndmask_b32_e64 v3, 0, -1, vcc
	v_cmp_eq_u32_e32 vcc, s43, v1
	v_cndmask_b32_e64 v15, v12, v11, s[2:3]
	v_lshl_add_u64 v[10:11], v[8:9], 0, 2
	v_lshl_add_u64 v[12:13], v[8:9], 0, 1
	v_cmp_ne_u32_e64 s[2:3], 0, v15
	v_cndmask_b32_e32 v1, v7, v3, vcc
	v_cmp_ne_u32_e32 vcc, 0, v1
	v_cndmask_b32_e64 v3, v12, v10, s[2:3]
	v_cndmask_b32_e64 v11, v13, v11, s[2:3]
	v_cndmask_b32_e32 v3, v8, v3, vcc
	v_xor_b32_e32 v7, s40, v6
	v_cndmask_b32_e32 v1, v9, v11, vcc
	v_xor_b32_e32 v3, v3, v7
	v_xor_b32_e32 v1, v1, v7
	v_sub_co_u32_e32 v6, vcc, v3, v7
                                        ; implicit-def: $vgpr8
	s_nop 1
	v_subb_co_u32_e32 v7, vcc, v1, v7, vcc
.LBB9_20:
	s_andn2_saveexec_b64 s[2:3], s[38:39]
	s_cbranch_execz .LBB9_22
; %bb.21:
	v_cvt_f32_u32_e32 v1, s12
	s_sub_i32 s20, 0, s12
	v_rcp_iflag_f32_e32 v1, v1
	s_nop 0
	v_mul_f32_e32 v1, 0x4f7ffffe, v1
	v_cvt_u32_f32_e32 v1, v1
	v_mul_lo_u32 v3, s20, v1
	v_mul_hi_u32 v3, v1, v3
	v_add_u32_e32 v1, v1, v3
	v_mul_hi_u32 v1, v8, v1
	v_mul_lo_u32 v3, v1, s12
	v_sub_u32_e32 v3, v8, v3
	v_add_u32_e32 v6, 1, v1
	v_subrev_u32_e32 v7, s12, v3
	v_cmp_le_u32_e32 vcc, s12, v3
	s_nop 1
	v_cndmask_b32_e32 v3, v3, v7, vcc
	v_cndmask_b32_e32 v1, v1, v6, vcc
	v_add_u32_e32 v6, 1, v1
	v_cmp_le_u32_e32 vcc, s12, v3
	v_mov_b32_e32 v7, 0
	s_nop 0
	v_cndmask_b32_e32 v6, v1, v6, vcc
.LBB9_22:
	s_or_b64 exec, exec, s[2:3]
.LBB9_23:
	s_or_b64 exec, exec, s[36:37]
	v_or_b32_e32 v9, s13, v5
	v_mov_b32_e32 v8, 0
	v_cmp_ne_u64_e32 vcc, 0, v[8:9]
                                        ; implicit-def: $vgpr10_vgpr11
	s_and_saveexec_b64 s[2:3], vcc
	s_xor_b64 s[36:37], exec, s[2:3]
	s_cbranch_execz .LBB9_25
; %bb.24:
	s_ashr_i32 s38, s13, 31
	s_add_u32 s2, s12, s38
	s_mov_b32 s39, s38
	s_addc_u32 s3, s13, s38
	s_xor_b64 s[40:41], s[2:3], s[38:39]
	v_cvt_f32_u32_e32 v1, s40
	v_cvt_f32_u32_e32 v3, s41
	s_sub_u32 s20, 0, s40
	s_subb_u32 s39, 0, s41
	v_ashrrev_i32_e32 v10, 31, v5
	v_fmamk_f32 v1, v3, 0x4f800000, v1
	v_rcp_f32_e32 v1, v1
	v_mov_b32_e32 v11, v10
	v_lshl_add_u64 v[12:13], v[4:5], 0, v[10:11]
	v_mov_b32_e32 v17, v8
	v_mul_f32_e32 v1, 0x5f7ffffc, v1
	v_mul_f32_e32 v3, 0x2f800000, v1
	v_trunc_f32_e32 v3, v3
	v_fmamk_f32 v1, v3, 0xcf800000, v1
	v_cvt_u32_f32_e32 v3, v3
	v_cvt_u32_f32_e32 v1, v1
	v_readfirstlane_b32 s42, v3
	v_readfirstlane_b32 s2, v1
	s_mul_i32 s3, s20, s42
	s_mul_hi_u32 s44, s20, s2
	s_mul_i32 s43, s39, s2
	s_add_i32 s3, s44, s3
	s_add_i32 s3, s3, s43
	s_mul_i32 s45, s20, s2
	s_mul_i32 s44, s2, s3
	s_mul_hi_u32 s46, s2, s45
	s_mul_hi_u32 s43, s2, s3
	s_add_u32 s44, s46, s44
	s_addc_u32 s43, 0, s43
	s_mul_hi_u32 s47, s42, s45
	s_mul_i32 s45, s42, s45
	s_add_u32 s44, s44, s45
	s_mul_hi_u32 s46, s42, s3
	s_addc_u32 s43, s43, s47
	s_addc_u32 s44, s46, 0
	s_mul_i32 s3, s42, s3
	s_add_u32 s3, s43, s3
	s_addc_u32 s43, 0, s44
	s_add_u32 s44, s2, s3
	s_cselect_b64 s[2:3], -1, 0
	s_cmp_lg_u64 s[2:3], 0
	s_addc_u32 s42, s42, s43
	s_mul_i32 s2, s20, s42
	s_mul_hi_u32 s3, s20, s44
	s_add_i32 s2, s3, s2
	s_mul_i32 s39, s39, s44
	s_add_i32 s2, s2, s39
	s_mul_i32 s20, s20, s44
	s_mul_hi_u32 s39, s42, s20
	s_mul_i32 s43, s42, s20
	s_mul_i32 s46, s44, s2
	s_mul_hi_u32 s20, s44, s20
	s_mul_hi_u32 s45, s44, s2
	s_add_u32 s20, s20, s46
	s_addc_u32 s45, 0, s45
	s_add_u32 s20, s20, s43
	s_mul_hi_u32 s3, s42, s2
	s_addc_u32 s20, s45, s39
	s_addc_u32 s3, s3, 0
	s_mul_i32 s2, s42, s2
	s_add_u32 s2, s20, s2
	s_addc_u32 s20, 0, s3
	s_add_u32 s39, s44, s2
	s_cselect_b64 s[2:3], -1, 0
	s_cmp_lg_u64 s[2:3], 0
	s_addc_u32 s20, s42, s20
	v_xor_b32_e32 v3, v12, v10
	v_xor_b32_e32 v1, v13, v10
	v_mad_u64_u32 v[12:13], s[2:3], v3, s20, 0
	v_mul_hi_u32 v16, v3, s39
	v_lshl_add_u64 v[12:13], v[16:17], 0, v[12:13]
	v_mad_u64_u32 v[18:19], s[2:3], v1, s39, 0
	v_add_co_u32_e32 v9, vcc, v12, v18
	v_mad_u64_u32 v[16:17], s[2:3], v1, s20, 0
	s_nop 0
	v_addc_co_u32_e32 v12, vcc, v13, v19, vcc
	v_mov_b32_e32 v13, v8
	s_nop 0
	v_addc_co_u32_e32 v17, vcc, 0, v17, vcc
	v_lshl_add_u64 v[8:9], v[12:13], 0, v[16:17]
	v_mul_lo_u32 v11, s41, v8
	v_mul_lo_u32 v15, s40, v9
	v_mad_u64_u32 v[12:13], s[2:3], s40, v8, 0
	v_add3_u32 v11, v13, v15, v11
	v_sub_u32_e32 v13, v1, v11
	v_mov_b32_e32 v15, s41
	v_sub_co_u32_e32 v3, vcc, v3, v12
	v_lshl_add_u64 v[16:17], v[8:9], 0, 1
	s_nop 0
	v_subb_co_u32_e64 v12, s[2:3], v13, v15, vcc
	v_subrev_co_u32_e64 v13, s[2:3], s40, v3
	v_subb_co_u32_e32 v1, vcc, v1, v11, vcc
	s_nop 0
	v_subbrev_co_u32_e64 v12, s[2:3], 0, v12, s[2:3]
	v_cmp_le_u32_e64 s[2:3], s41, v12
	v_cmp_le_u32_e32 vcc, s41, v1
	s_nop 0
	v_cndmask_b32_e64 v15, 0, -1, s[2:3]
	v_cmp_le_u32_e64 s[2:3], s40, v13
	v_cndmask_b32_e64 v11, 0, -1, vcc
	v_cmp_le_u32_e32 vcc, s40, v3
	v_cndmask_b32_e64 v13, 0, -1, s[2:3]
	v_cmp_eq_u32_e64 s[2:3], s41, v12
	v_cndmask_b32_e64 v3, 0, -1, vcc
	v_cmp_eq_u32_e32 vcc, s41, v1
	v_cndmask_b32_e64 v15, v15, v13, s[2:3]
	v_lshl_add_u64 v[12:13], v[8:9], 0, 2
	v_cmp_ne_u32_e64 s[2:3], 0, v15
	v_cndmask_b32_e32 v1, v11, v3, vcc
	v_cmp_ne_u32_e32 vcc, 0, v1
	v_cndmask_b32_e64 v3, v16, v12, s[2:3]
	v_cndmask_b32_e64 v13, v17, v13, s[2:3]
	v_cndmask_b32_e32 v3, v8, v3, vcc
	v_xor_b32_e32 v8, s38, v10
	v_cndmask_b32_e32 v1, v9, v13, vcc
	v_xor_b32_e32 v3, v3, v8
	v_xor_b32_e32 v1, v1, v8
	v_sub_co_u32_e32 v10, vcc, v3, v8
	s_nop 1
	v_subb_co_u32_e32 v11, vcc, v1, v8, vcc
.LBB9_25:
	s_andn2_saveexec_b64 s[2:3], s[36:37]
	s_cbranch_execz .LBB9_27
; %bb.26:
	v_cvt_f32_u32_e32 v1, s12
	s_sub_i32 s20, 0, s12
	v_mov_b32_e32 v11, 0
	v_rcp_iflag_f32_e32 v1, v1
	s_nop 0
	v_mul_f32_e32 v1, 0x4f7ffffe, v1
	v_cvt_u32_f32_e32 v1, v1
	v_mul_lo_u32 v3, s20, v1
	v_mul_hi_u32 v3, v1, v3
	v_add_u32_e32 v1, v1, v3
	v_mul_hi_u32 v1, v4, v1
	v_mul_lo_u32 v3, v1, s12
	v_sub_u32_e32 v3, v4, v3
	v_add_u32_e32 v8, 1, v1
	v_subrev_u32_e32 v9, s12, v3
	v_cmp_le_u32_e32 vcc, s12, v3
	s_nop 1
	v_cndmask_b32_e32 v3, v3, v9, vcc
	v_cndmask_b32_e32 v1, v1, v8, vcc
	v_add_u32_e32 v8, 1, v1
	v_cmp_le_u32_e32 vcc, s12, v3
	s_nop 1
	v_cndmask_b32_e32 v10, v1, v8, vcc
.LBB9_27:
	s_or_b64 exec, exec, s[2:3]
	v_mul_lo_u32 v1, v7, s12
	v_mul_lo_u32 v3, v6, s13
	v_mad_u64_u32 v[8:9], s[2:3], v6, s12, 0
	v_add3_u32 v9, v9, v3, v1
	v_cmp_gt_i64_e32 vcc, v[8:9], v[4:5]
	v_mov_b64_e32 v[8:9], s[10:11]
	v_mad_u64_u32 v[8:9], s[2:3], v6, s12, v[8:9]
	v_add3_u32 v9, v1, v9, v3
	v_cmp_ge_i64_e64 s[2:3], v[4:5], v[8:9]
	s_or_b64 s[2:3], vcc, s[2:3]
	v_mov_b32_e32 v1, s15
	v_cndmask_b32_e64 v8, 0, 1, s[2:3]
	s_mov_b32 s2, 0
	v_mov_b32_e32 v9, s2
	v_cmp_gt_i64_e32 vcc, s[14:15], v[10:11]
	v_lshl_add_u64 v[12:13], v[6:7], 0, v[8:9]
	s_nop 0
	v_cndmask_b32_e32 v7, v1, v11, vcc
	v_mov_b32_e32 v1, s14
	v_cndmask_b32_e32 v6, v1, v10, vcc
	v_cmp_le_i64_e32 vcc, v[12:13], v[6:7]
	s_and_saveexec_b64 s[2:3], vcc
	s_cbranch_execz .LBB9_30
; %bb.28:
	global_load_ushort v10, v2, s[4:5]
	v_mul_lo_u32 v11, s13, v12
	v_mul_lo_u32 v15, s12, v13
	v_mad_u64_u32 v[16:17], s[36:37], s12, v12, 0
	v_add3_u32 v11, v17, v15, v11
	v_sub_co_u32_e32 v4, vcc, v4, v16
	v_mov_b32_e32 v3, 0
	s_nop 0
	v_subb_co_u32_e32 v5, vcc, v5, v11, vcc
	v_mul_lo_u32 v11, s19, v4
	v_mul_lo_u32 v15, s18, v5
	v_mad_u64_u32 v[4:5], s[36:37], s18, v4, 0
	v_lshl_add_u64 v[8:9], s[4:5], 0, v[2:3]
	v_mov_b32_e32 v1, v3
	v_lshl_add_u64 v[2:3], v[12:13], 0, -1
	v_add3_u32 v5, v5, v15, v11
	v_mul_lo_u32 v11, s17, v12
	v_mul_lo_u32 v15, s16, v13
	v_mad_u64_u32 v[12:13], s[36:37], s16, v12, 0
	s_mul_i32 s20, s12, s19
	s_mul_hi_u32 s38, s12, s18
	v_add3_u32 v13, v13, v15, v11
	s_add_i32 s20, s38, s20
	s_mul_i32 s38, s13, s18
	v_lshlrev_b64 v[12:13], 1, v[12:13]
	s_add_i32 s39, s20, s38
	s_mul_i32 s38, s12, s18
	v_lshl_add_u64 v[4:5], v[4:5], 1, v[12:13]
	s_lshl_b64 s[36:37], s[16:17], 1
	s_lshl_b64 s[38:39], s[38:39], 1
	v_lshl_add_u64 v[0:1], v[4:5], 0, v[0:1]
	s_sub_u32 s36, s36, s38
	v_lshl_add_u64 v[0:1], s[6:7], 0, v[0:1]
	s_subb_u32 s37, s37, s39
	s_mov_b64 s[38:39], 0
.LBB9_29:                               ; =>This Inner Loop Header: Depth=1
	global_load_ushort v4, v[0:1], off
	v_lshl_add_u64 v[2:3], v[2:3], 0, 1
	v_cmp_ge_i64_e32 vcc, v[2:3], v[6:7]
	v_lshl_add_u64 v[0:1], v[0:1], 0, s[36:37]
	s_or_b64 s[38:39], vcc, s[38:39]
	s_waitcnt vmcnt(0)
	v_add_f16_e32 v10, v10, v4
	global_store_short v[8:9], v10, off
	s_andn2_b64 exec, exec, s[38:39]
	s_cbranch_execnz .LBB9_29
.LBB9_30:
	s_or_b64 exec, exec, s[2:3]
	v_add_u32_e32 v14, 0x100, v14
	s_or_b64 exec, exec, s[66:67]
	v_cmp_gt_i32_e32 vcc, s70, v14
	s_and_saveexec_b64 s[66:67], vcc
	s_cbranch_execz .LBB9_2
.LBB9_31:
	s_and_b64 vcc, exec, s[0:1]
	s_cbranch_vccnz .LBB9_37
; %bb.32:
	v_mov_b32_e32 v4, 0
	s_andn2_b64 vcc, exec, s[64:65]
	v_mov_b32_e32 v0, 0
	v_mov_b32_e32 v2, 0
	s_cbranch_vccnz .LBB9_41
; %bb.33:
	s_add_i32 s71, s69, 1
	s_cmp_eq_u32 s68, 2
	s_cbranch_scc1 .LBB9_38
; %bb.34:
	s_and_b32 s20, s71, 28
	v_mov_b32_e32 v2, 0
	s_mov_b32 s72, 0
	s_mov_b64 s[2:3], s[62:63]
	v_mov_b32_e32 v6, v14
	v_mov_b32_e32 v0, 0
	;; [unrolled: 1-line block ×3, first 2 shown]
.LBB9_35:                               ; =>This Inner Loop Header: Depth=1
	s_load_dwordx8 s[36:43], s[2:3], 0x0
	s_load_dwordx4 s[52:55], s[2:3], 0x20
	s_load_dwordx4 s[56:59], s[2:3], 0xe0
	s_load_dwordx8 s[44:51], s[2:3], 0xc0
	s_add_i32 s72, s72, 4
	s_waitcnt lgkmcnt(0)
	v_mul_hi_u32 v1, s37, v6
	v_add_u32_e32 v1, v6, v1
	v_lshrrev_b32_e32 v1, s38, v1
	v_mul_hi_u32 v5, s40, v1
	v_add_u32_e32 v5, v1, v5
	v_lshrrev_b32_e32 v5, s41, v5
	v_mul_lo_u32 v3, v1, s36
	v_mul_lo_u32 v8, v5, s39
	v_mul_hi_u32 v9, s43, v5
	v_sub_u32_e32 v3, v6, v3
	v_sub_u32_e32 v1, v1, v8
	v_add_u32_e32 v8, v5, v9
	v_mul_lo_u32 v6, v3, s44
	v_mul_lo_u32 v7, v3, s46
	;; [unrolled: 1-line block ×6, first 2 shown]
	v_lshrrev_b32_e32 v8, s52, v8
	v_add3_u32 v0, v3, v0, v1
	v_add3_u32 v1, v7, v4, v10
	v_mul_hi_u32 v4, s54, v8
	v_add_u32_e32 v4, v8, v4
	v_add3_u32 v2, v6, v2, v9
	v_lshrrev_b32_e32 v6, s55, v4
	v_mul_lo_u32 v3, v8, s42
	v_mul_lo_u32 v4, v6, s53
	s_add_u32 s2, s2, 48
	v_sub_u32_e32 v3, v5, v3
	v_sub_u32_e32 v4, v8, v4
	s_addc_u32 s3, s3, 0
	v_mul_lo_u32 v5, v3, s50
	v_mul_lo_u32 v7, v3, s51
	;; [unrolled: 1-line block ×6, first 2 shown]
	s_cmp_eq_u32 s20, s72
	v_add3_u32 v2, v5, v2, v8
	v_add3_u32 v4, v3, v1, v4
	;; [unrolled: 1-line block ×3, first 2 shown]
	s_cbranch_scc0 .LBB9_35
; %bb.36:
	v_mov_b32_e32 v1, v4
	s_and_b32 s36, s71, 3
	s_cmp_eq_u32 s36, 0
	s_cbranch_scc0 .LBB9_39
	s_branch .LBB9_41
.LBB9_37:
                                        ; implicit-def: $vgpr4
                                        ; implicit-def: $vgpr0
                                        ; implicit-def: $vgpr2
	s_branch .LBB9_42
.LBB9_38:
	v_mov_b32_e32 v0, 0
	s_mov_b32 s20, 0
	v_mov_b32_e32 v1, v0
                                        ; implicit-def: $vgpr4
	v_mov_b32_e32 v6, v14
	v_mov_b32_e32 v2, v0
	s_and_b32 s36, s71, 3
	s_cmp_eq_u32 s36, 0
	s_cbranch_scc1 .LBB9_41
.LBB9_39:
	s_mul_i32 s2, s20, 12
	s_add_u32 s2, s27, s2
	s_addc_u32 s3, s33, 0
	s_add_u32 s2, s2, 4
	s_addc_u32 s3, s3, 0
.LBB9_40:                               ; =>This Inner Loop Header: Depth=1
	s_load_dwordx2 s[38:39], s[2:3], 0x0
	s_load_dword s20, s[2:3], 0x8
	s_load_dwordx2 s[40:41], s[2:3], 0xc0
	s_load_dword s37, s[2:3], 0xc8
	v_mov_b32_e32 v4, v1
	s_waitcnt lgkmcnt(0)
	v_mul_hi_u32 v1, s39, v6
	v_add_u32_e32 v1, v6, v1
	v_lshrrev_b32_e32 v1, s20, v1
	v_mul_lo_u32 v3, v1, s38
	s_add_u32 s2, s2, 12
	v_sub_u32_e32 v7, v6, v3
	s_addc_u32 s3, s3, 0
	s_add_i32 s36, s36, -1
	v_mov_b32_e32 v6, v1
	v_mad_u64_u32 v[4:5], s[38:39], v7, s37, v[4:5]
	v_mad_u64_u32 v[0:1], s[38:39], v7, s41, v[0:1]
	s_cmp_lg_u32 s36, 0
	v_mad_u64_u32 v[2:3], s[38:39], v7, s40, v[2:3]
	v_mov_b32_e32 v1, v4
	s_cbranch_scc1 .LBB9_40
.LBB9_41:
	s_cbranch_execnz .LBB9_44
.LBB9_42:
	v_mul_hi_u32 v0, s22, v14
	v_add_u32_e32 v0, v14, v0
	v_lshrrev_b32_e32 v1, s23, v0
	v_mul_lo_u32 v0, v1, s21
	v_sub_u32_e32 v0, v14, v0
	v_mul_lo_u32 v2, v0, s28
	v_mul_lo_u32 v4, v0, s30
	s_andn2_b64 vcc, exec, s[60:61]
	v_mul_lo_u32 v0, v0, s29
	s_cbranch_vccnz .LBB9_44
; %bb.43:
	v_mul_hi_u32 v3, s25, v1
	v_add_u32_e32 v3, v1, v3
	v_lshrrev_b32_e32 v3, s26, v3
	v_mul_lo_u32 v3, v3, s24
	v_sub_u32_e32 v5, v1, v3
	v_mad_u64_u32 v[2:3], s[2:3], v5, s31, v[2:3]
	v_mad_u64_u32 v[0:1], s[2:3], v5, s34, v[0:1]
	;; [unrolled: 1-line block ×3, first 2 shown]
.LBB9_44:
	global_load_dwordx2 v[4:5], v4, s[8:9]
	v_mov_b64_e32 v[6:7], 0
	s_waitcnt vmcnt(0)
	v_cmp_lt_i64_e32 vcc, s[10:11], v[4:5]
	s_and_saveexec_b64 s[36:37], vcc
	s_cbranch_execz .LBB9_50
; %bb.45:
	v_mov_b32_e32 v1, s11
	v_subrev_co_u32_e32 v8, vcc, s10, v4
	v_mov_b32_e32 v10, 0
	s_nop 0
	v_subb_co_u32_e32 v9, vcc, v5, v1, vcc
	v_or_b32_e32 v11, s13, v9
	v_cmp_ne_u64_e32 vcc, 0, v[10:11]
                                        ; implicit-def: $vgpr6_vgpr7
	s_and_saveexec_b64 s[2:3], vcc
	s_xor_b64 s[38:39], exec, s[2:3]
	s_cbranch_execz .LBB9_47
; %bb.46:
	s_ashr_i32 s40, s13, 31
	s_add_u32 s2, s12, s40
	s_mov_b32 s41, s40
	s_addc_u32 s3, s13, s40
	s_xor_b64 s[42:43], s[2:3], s[40:41]
	v_cvt_f32_u32_e32 v1, s42
	v_cvt_f32_u32_e32 v3, s43
	s_sub_u32 s20, 0, s42
	s_subb_u32 s41, 0, s43
	v_ashrrev_i32_e32 v6, 31, v9
	v_fmamk_f32 v1, v3, 0x4f800000, v1
	v_rcp_f32_e32 v1, v1
	v_mov_b32_e32 v7, v6
	v_lshl_add_u64 v[8:9], v[8:9], 0, v[6:7]
	v_mov_b32_e32 v13, v10
	v_mul_f32_e32 v1, 0x5f7ffffc, v1
	v_mul_f32_e32 v3, 0x2f800000, v1
	v_trunc_f32_e32 v3, v3
	v_fmamk_f32 v1, v3, 0xcf800000, v1
	v_cvt_u32_f32_e32 v3, v3
	v_cvt_u32_f32_e32 v1, v1
	v_readfirstlane_b32 s44, v3
	v_readfirstlane_b32 s2, v1
	s_mul_i32 s3, s20, s44
	s_mul_hi_u32 s46, s20, s2
	s_mul_i32 s45, s41, s2
	s_add_i32 s3, s46, s3
	s_add_i32 s3, s3, s45
	s_mul_i32 s47, s20, s2
	s_mul_i32 s46, s2, s3
	s_mul_hi_u32 s48, s2, s47
	s_mul_hi_u32 s45, s2, s3
	s_add_u32 s46, s48, s46
	s_addc_u32 s45, 0, s45
	s_mul_hi_u32 s49, s44, s47
	s_mul_i32 s47, s44, s47
	s_add_u32 s46, s46, s47
	s_mul_hi_u32 s48, s44, s3
	s_addc_u32 s45, s45, s49
	s_addc_u32 s46, s48, 0
	s_mul_i32 s3, s44, s3
	s_add_u32 s3, s45, s3
	s_addc_u32 s45, 0, s46
	s_add_u32 s46, s2, s3
	s_cselect_b64 s[2:3], -1, 0
	s_cmp_lg_u64 s[2:3], 0
	s_addc_u32 s44, s44, s45
	s_mul_i32 s2, s20, s44
	s_mul_hi_u32 s3, s20, s46
	s_add_i32 s2, s3, s2
	s_mul_i32 s41, s41, s46
	s_add_i32 s2, s2, s41
	s_mul_i32 s20, s20, s46
	s_mul_hi_u32 s41, s44, s20
	s_mul_i32 s45, s44, s20
	s_mul_i32 s48, s46, s2
	s_mul_hi_u32 s20, s46, s20
	s_mul_hi_u32 s47, s46, s2
	s_add_u32 s20, s20, s48
	s_addc_u32 s47, 0, s47
	s_add_u32 s20, s20, s45
	s_mul_hi_u32 s3, s44, s2
	s_addc_u32 s20, s47, s41
	s_addc_u32 s3, s3, 0
	s_mul_i32 s2, s44, s2
	s_add_u32 s2, s20, s2
	s_addc_u32 s20, 0, s3
	s_add_u32 s41, s46, s2
	s_cselect_b64 s[2:3], -1, 0
	s_cmp_lg_u64 s[2:3], 0
	s_addc_u32 s20, s44, s20
	v_xor_b32_e32 v3, v8, v6
	v_xor_b32_e32 v1, v9, v6
	v_mad_u64_u32 v[8:9], s[2:3], v3, s20, 0
	v_mul_hi_u32 v12, v3, s41
	v_lshl_add_u64 v[8:9], v[12:13], 0, v[8:9]
	v_mad_u64_u32 v[16:17], s[2:3], v1, s41, 0
	v_add_co_u32_e32 v7, vcc, v8, v16
	v_mad_u64_u32 v[12:13], s[2:3], v1, s20, 0
	s_nop 0
	v_addc_co_u32_e32 v8, vcc, v9, v17, vcc
	v_mov_b32_e32 v9, v10
	s_nop 0
	v_addc_co_u32_e32 v13, vcc, 0, v13, vcc
	v_lshl_add_u64 v[8:9], v[8:9], 0, v[12:13]
	v_mul_lo_u32 v7, s43, v8
	v_mul_lo_u32 v12, s42, v9
	v_mad_u64_u32 v[10:11], s[2:3], s42, v8, 0
	v_add3_u32 v7, v11, v12, v7
	v_sub_u32_e32 v11, v1, v7
	v_mov_b32_e32 v12, s43
	v_sub_co_u32_e32 v3, vcc, v3, v10
	s_nop 1
	v_subb_co_u32_e64 v10, s[2:3], v11, v12, vcc
	v_subrev_co_u32_e64 v11, s[2:3], s42, v3
	v_subb_co_u32_e32 v1, vcc, v1, v7, vcc
	s_nop 0
	v_subbrev_co_u32_e64 v10, s[2:3], 0, v10, s[2:3]
	v_cmp_le_u32_e64 s[2:3], s43, v10
	v_cmp_le_u32_e32 vcc, s43, v1
	s_nop 0
	v_cndmask_b32_e64 v12, 0, -1, s[2:3]
	v_cmp_le_u32_e64 s[2:3], s42, v11
	v_cndmask_b32_e64 v7, 0, -1, vcc
	v_cmp_le_u32_e32 vcc, s42, v3
	v_cndmask_b32_e64 v11, 0, -1, s[2:3]
	v_cmp_eq_u32_e64 s[2:3], s43, v10
	v_cndmask_b32_e64 v3, 0, -1, vcc
	v_cmp_eq_u32_e32 vcc, s43, v1
	v_cndmask_b32_e64 v15, v12, v11, s[2:3]
	v_lshl_add_u64 v[10:11], v[8:9], 0, 2
	v_lshl_add_u64 v[12:13], v[8:9], 0, 1
	v_cmp_ne_u32_e64 s[2:3], 0, v15
	v_cndmask_b32_e32 v1, v7, v3, vcc
	v_cmp_ne_u32_e32 vcc, 0, v1
	v_cndmask_b32_e64 v3, v12, v10, s[2:3]
	v_cndmask_b32_e64 v11, v13, v11, s[2:3]
	v_cndmask_b32_e32 v3, v8, v3, vcc
	v_xor_b32_e32 v7, s40, v6
	v_cndmask_b32_e32 v1, v9, v11, vcc
	v_xor_b32_e32 v3, v3, v7
	v_xor_b32_e32 v1, v1, v7
	v_sub_co_u32_e32 v6, vcc, v3, v7
                                        ; implicit-def: $vgpr8
	s_nop 1
	v_subb_co_u32_e32 v7, vcc, v1, v7, vcc
.LBB9_47:
	s_andn2_saveexec_b64 s[2:3], s[38:39]
	s_cbranch_execz .LBB9_49
; %bb.48:
	v_cvt_f32_u32_e32 v1, s12
	s_sub_i32 s20, 0, s12
	v_rcp_iflag_f32_e32 v1, v1
	s_nop 0
	v_mul_f32_e32 v1, 0x4f7ffffe, v1
	v_cvt_u32_f32_e32 v1, v1
	v_mul_lo_u32 v3, s20, v1
	v_mul_hi_u32 v3, v1, v3
	v_add_u32_e32 v1, v1, v3
	v_mul_hi_u32 v1, v8, v1
	v_mul_lo_u32 v3, v1, s12
	v_sub_u32_e32 v3, v8, v3
	v_add_u32_e32 v6, 1, v1
	v_subrev_u32_e32 v7, s12, v3
	v_cmp_le_u32_e32 vcc, s12, v3
	s_nop 1
	v_cndmask_b32_e32 v3, v3, v7, vcc
	v_cndmask_b32_e32 v1, v1, v6, vcc
	v_add_u32_e32 v6, 1, v1
	v_cmp_le_u32_e32 vcc, s12, v3
	v_mov_b32_e32 v7, 0
	s_nop 0
	v_cndmask_b32_e32 v6, v1, v6, vcc
.LBB9_49:
	s_or_b64 exec, exec, s[2:3]
.LBB9_50:
	s_or_b64 exec, exec, s[36:37]
	v_or_b32_e32 v9, s13, v5
	v_mov_b32_e32 v8, 0
	v_cmp_ne_u64_e32 vcc, 0, v[8:9]
                                        ; implicit-def: $vgpr10_vgpr11
	s_and_saveexec_b64 s[2:3], vcc
	s_xor_b64 s[36:37], exec, s[2:3]
	s_cbranch_execz .LBB9_52
; %bb.51:
	s_ashr_i32 s38, s13, 31
	s_add_u32 s2, s12, s38
	s_mov_b32 s39, s38
	s_addc_u32 s3, s13, s38
	s_xor_b64 s[40:41], s[2:3], s[38:39]
	v_cvt_f32_u32_e32 v1, s40
	v_cvt_f32_u32_e32 v3, s41
	s_sub_u32 s20, 0, s40
	s_subb_u32 s39, 0, s41
	v_ashrrev_i32_e32 v10, 31, v5
	v_fmamk_f32 v1, v3, 0x4f800000, v1
	v_rcp_f32_e32 v1, v1
	v_mov_b32_e32 v11, v10
	v_lshl_add_u64 v[12:13], v[4:5], 0, v[10:11]
	v_mov_b32_e32 v17, v8
	v_mul_f32_e32 v1, 0x5f7ffffc, v1
	v_mul_f32_e32 v3, 0x2f800000, v1
	v_trunc_f32_e32 v3, v3
	v_fmamk_f32 v1, v3, 0xcf800000, v1
	v_cvt_u32_f32_e32 v3, v3
	v_cvt_u32_f32_e32 v1, v1
	v_readfirstlane_b32 s42, v3
	v_readfirstlane_b32 s2, v1
	s_mul_i32 s3, s20, s42
	s_mul_hi_u32 s44, s20, s2
	s_mul_i32 s43, s39, s2
	s_add_i32 s3, s44, s3
	s_add_i32 s3, s3, s43
	s_mul_i32 s45, s20, s2
	s_mul_i32 s44, s2, s3
	s_mul_hi_u32 s46, s2, s45
	s_mul_hi_u32 s43, s2, s3
	s_add_u32 s44, s46, s44
	s_addc_u32 s43, 0, s43
	s_mul_hi_u32 s47, s42, s45
	s_mul_i32 s45, s42, s45
	s_add_u32 s44, s44, s45
	s_mul_hi_u32 s46, s42, s3
	s_addc_u32 s43, s43, s47
	s_addc_u32 s44, s46, 0
	s_mul_i32 s3, s42, s3
	s_add_u32 s3, s43, s3
	s_addc_u32 s43, 0, s44
	s_add_u32 s44, s2, s3
	s_cselect_b64 s[2:3], -1, 0
	s_cmp_lg_u64 s[2:3], 0
	s_addc_u32 s42, s42, s43
	s_mul_i32 s2, s20, s42
	s_mul_hi_u32 s3, s20, s44
	s_add_i32 s2, s3, s2
	s_mul_i32 s39, s39, s44
	s_add_i32 s2, s2, s39
	s_mul_i32 s20, s20, s44
	s_mul_hi_u32 s39, s42, s20
	s_mul_i32 s43, s42, s20
	s_mul_i32 s46, s44, s2
	s_mul_hi_u32 s20, s44, s20
	s_mul_hi_u32 s45, s44, s2
	s_add_u32 s20, s20, s46
	s_addc_u32 s45, 0, s45
	s_add_u32 s20, s20, s43
	s_mul_hi_u32 s3, s42, s2
	s_addc_u32 s20, s45, s39
	s_addc_u32 s3, s3, 0
	s_mul_i32 s2, s42, s2
	s_add_u32 s2, s20, s2
	s_addc_u32 s20, 0, s3
	s_add_u32 s39, s44, s2
	s_cselect_b64 s[2:3], -1, 0
	s_cmp_lg_u64 s[2:3], 0
	s_addc_u32 s20, s42, s20
	v_xor_b32_e32 v3, v12, v10
	v_xor_b32_e32 v1, v13, v10
	v_mad_u64_u32 v[12:13], s[2:3], v3, s20, 0
	v_mul_hi_u32 v16, v3, s39
	v_lshl_add_u64 v[12:13], v[16:17], 0, v[12:13]
	v_mad_u64_u32 v[18:19], s[2:3], v1, s39, 0
	v_add_co_u32_e32 v9, vcc, v12, v18
	v_mad_u64_u32 v[16:17], s[2:3], v1, s20, 0
	s_nop 0
	v_addc_co_u32_e32 v12, vcc, v13, v19, vcc
	v_mov_b32_e32 v13, v8
	s_nop 0
	v_addc_co_u32_e32 v17, vcc, 0, v17, vcc
	v_lshl_add_u64 v[8:9], v[12:13], 0, v[16:17]
	v_mul_lo_u32 v11, s41, v8
	v_mul_lo_u32 v15, s40, v9
	v_mad_u64_u32 v[12:13], s[2:3], s40, v8, 0
	v_add3_u32 v11, v13, v15, v11
	v_sub_u32_e32 v13, v1, v11
	v_mov_b32_e32 v15, s41
	v_sub_co_u32_e32 v3, vcc, v3, v12
	v_lshl_add_u64 v[16:17], v[8:9], 0, 1
	s_nop 0
	v_subb_co_u32_e64 v12, s[2:3], v13, v15, vcc
	v_subrev_co_u32_e64 v13, s[2:3], s40, v3
	v_subb_co_u32_e32 v1, vcc, v1, v11, vcc
	s_nop 0
	v_subbrev_co_u32_e64 v12, s[2:3], 0, v12, s[2:3]
	v_cmp_le_u32_e64 s[2:3], s41, v12
	v_cmp_le_u32_e32 vcc, s41, v1
	s_nop 0
	v_cndmask_b32_e64 v15, 0, -1, s[2:3]
	v_cmp_le_u32_e64 s[2:3], s40, v13
	v_cndmask_b32_e64 v11, 0, -1, vcc
	v_cmp_le_u32_e32 vcc, s40, v3
	v_cndmask_b32_e64 v13, 0, -1, s[2:3]
	v_cmp_eq_u32_e64 s[2:3], s41, v12
	v_cndmask_b32_e64 v3, 0, -1, vcc
	v_cmp_eq_u32_e32 vcc, s41, v1
	v_cndmask_b32_e64 v15, v15, v13, s[2:3]
	v_lshl_add_u64 v[12:13], v[8:9], 0, 2
	v_cmp_ne_u32_e64 s[2:3], 0, v15
	v_cndmask_b32_e32 v1, v11, v3, vcc
	v_cmp_ne_u32_e32 vcc, 0, v1
	v_cndmask_b32_e64 v3, v16, v12, s[2:3]
	v_cndmask_b32_e64 v13, v17, v13, s[2:3]
	v_cndmask_b32_e32 v3, v8, v3, vcc
	v_xor_b32_e32 v8, s38, v10
	v_cndmask_b32_e32 v1, v9, v13, vcc
	v_xor_b32_e32 v3, v3, v8
	v_xor_b32_e32 v1, v1, v8
	v_sub_co_u32_e32 v10, vcc, v3, v8
	s_nop 1
	v_subb_co_u32_e32 v11, vcc, v1, v8, vcc
.LBB9_52:
	s_andn2_saveexec_b64 s[2:3], s[36:37]
	s_cbranch_execz .LBB9_54
; %bb.53:
	v_cvt_f32_u32_e32 v1, s12
	s_sub_i32 s20, 0, s12
	v_mov_b32_e32 v11, 0
	v_rcp_iflag_f32_e32 v1, v1
	s_nop 0
	v_mul_f32_e32 v1, 0x4f7ffffe, v1
	v_cvt_u32_f32_e32 v1, v1
	v_mul_lo_u32 v3, s20, v1
	v_mul_hi_u32 v3, v1, v3
	v_add_u32_e32 v1, v1, v3
	v_mul_hi_u32 v1, v4, v1
	v_mul_lo_u32 v3, v1, s12
	v_sub_u32_e32 v3, v4, v3
	v_add_u32_e32 v8, 1, v1
	v_subrev_u32_e32 v9, s12, v3
	v_cmp_le_u32_e32 vcc, s12, v3
	s_nop 1
	v_cndmask_b32_e32 v3, v3, v9, vcc
	v_cndmask_b32_e32 v1, v1, v8, vcc
	v_add_u32_e32 v8, 1, v1
	v_cmp_le_u32_e32 vcc, s12, v3
	s_nop 1
	v_cndmask_b32_e32 v10, v1, v8, vcc
.LBB9_54:
	s_or_b64 exec, exec, s[2:3]
	v_mul_lo_u32 v1, v7, s12
	v_mul_lo_u32 v3, v6, s13
	v_mad_u64_u32 v[8:9], s[2:3], v6, s12, 0
	v_add3_u32 v9, v9, v3, v1
	v_cmp_gt_i64_e32 vcc, v[8:9], v[4:5]
	v_mov_b64_e32 v[8:9], s[10:11]
	v_mad_u64_u32 v[8:9], s[2:3], v6, s12, v[8:9]
	v_add3_u32 v9, v1, v9, v3
	v_cmp_ge_i64_e64 s[2:3], v[4:5], v[8:9]
	s_or_b64 s[2:3], vcc, s[2:3]
	v_mov_b32_e32 v1, s15
	v_cndmask_b32_e64 v8, 0, 1, s[2:3]
	s_mov_b32 s2, 0
	v_mov_b32_e32 v9, s2
	v_cmp_gt_i64_e32 vcc, s[14:15], v[10:11]
	v_lshl_add_u64 v[12:13], v[6:7], 0, v[8:9]
	s_nop 0
	v_cndmask_b32_e32 v7, v1, v11, vcc
	v_mov_b32_e32 v1, s14
	v_cndmask_b32_e32 v6, v1, v10, vcc
	v_cmp_le_i64_e32 vcc, v[12:13], v[6:7]
	s_and_saveexec_b64 s[2:3], vcc
	s_cbranch_execz .LBB9_57
; %bb.55:
	global_load_ushort v10, v2, s[4:5]
	v_mul_lo_u32 v11, s13, v12
	v_mul_lo_u32 v15, s12, v13
	v_mad_u64_u32 v[16:17], s[36:37], s12, v12, 0
	v_add3_u32 v11, v17, v15, v11
	v_sub_co_u32_e32 v4, vcc, v4, v16
	v_mov_b32_e32 v3, 0
	s_nop 0
	v_subb_co_u32_e32 v5, vcc, v5, v11, vcc
	v_mul_lo_u32 v11, s19, v4
	v_mul_lo_u32 v15, s18, v5
	v_mad_u64_u32 v[4:5], s[36:37], s18, v4, 0
	v_lshl_add_u64 v[8:9], s[4:5], 0, v[2:3]
	v_mov_b32_e32 v1, v3
	v_lshl_add_u64 v[2:3], v[12:13], 0, -1
	v_add3_u32 v5, v5, v15, v11
	v_mul_lo_u32 v11, s17, v12
	v_mul_lo_u32 v15, s16, v13
	v_mad_u64_u32 v[12:13], s[36:37], s16, v12, 0
	s_mul_i32 s20, s12, s19
	s_mul_hi_u32 s38, s12, s18
	v_add3_u32 v13, v13, v15, v11
	s_add_i32 s20, s38, s20
	s_mul_i32 s38, s13, s18
	v_lshlrev_b64 v[12:13], 1, v[12:13]
	s_add_i32 s39, s20, s38
	s_mul_i32 s38, s12, s18
	v_lshl_add_u64 v[4:5], v[4:5], 1, v[12:13]
	s_lshl_b64 s[36:37], s[16:17], 1
	s_lshl_b64 s[38:39], s[38:39], 1
	v_lshl_add_u64 v[0:1], v[4:5], 0, v[0:1]
	s_sub_u32 s36, s36, s38
	v_lshl_add_u64 v[0:1], s[6:7], 0, v[0:1]
	s_subb_u32 s37, s37, s39
	s_mov_b64 s[38:39], 0
.LBB9_56:                               ; =>This Inner Loop Header: Depth=1
	global_load_ushort v4, v[0:1], off
	v_lshl_add_u64 v[2:3], v[2:3], 0, 1
	v_cmp_ge_i64_e32 vcc, v[2:3], v[6:7]
	v_lshl_add_u64 v[0:1], v[0:1], 0, s[36:37]
	s_or_b64 s[38:39], vcc, s[38:39]
	s_waitcnt vmcnt(0)
	v_add_f16_e32 v10, v10, v4
	global_store_short v[8:9], v10, off
	s_andn2_b64 exec, exec, s[38:39]
	s_cbranch_execnz .LBB9_56
.LBB9_57:
	s_or_b64 exec, exec, s[2:3]
	v_add_u32_e32 v14, 0x100, v14
	s_or_b64 exec, exec, s[66:67]
	v_cmp_gt_i32_e32 vcc, s70, v14
	s_and_saveexec_b64 s[66:67], vcc
	s_cbranch_execz .LBB9_3
.LBB9_58:
	s_and_b64 vcc, exec, s[0:1]
	s_cbranch_vccnz .LBB9_64
; %bb.59:
	v_mov_b32_e32 v4, 0
	s_andn2_b64 vcc, exec, s[64:65]
	v_mov_b32_e32 v0, 0
	v_mov_b32_e32 v2, 0
	s_cbranch_vccnz .LBB9_68
; %bb.60:
	s_add_i32 s71, s69, 1
	s_cmp_eq_u32 s68, 2
	s_cbranch_scc1 .LBB9_65
; %bb.61:
	s_and_b32 s20, s71, 28
	v_mov_b32_e32 v2, 0
	s_mov_b32 s72, 0
	s_mov_b64 s[2:3], s[62:63]
	v_mov_b32_e32 v6, v14
	v_mov_b32_e32 v0, 0
	;; [unrolled: 1-line block ×3, first 2 shown]
.LBB9_62:                               ; =>This Inner Loop Header: Depth=1
	s_load_dwordx8 s[36:43], s[2:3], 0x0
	s_load_dwordx4 s[52:55], s[2:3], 0x20
	s_load_dwordx4 s[56:59], s[2:3], 0xe0
	s_load_dwordx8 s[44:51], s[2:3], 0xc0
	s_add_i32 s72, s72, 4
	s_waitcnt lgkmcnt(0)
	v_mul_hi_u32 v1, s37, v6
	v_add_u32_e32 v1, v6, v1
	v_lshrrev_b32_e32 v1, s38, v1
	v_mul_hi_u32 v5, s40, v1
	v_add_u32_e32 v5, v1, v5
	v_lshrrev_b32_e32 v5, s41, v5
	v_mul_lo_u32 v3, v1, s36
	v_mul_lo_u32 v8, v5, s39
	v_mul_hi_u32 v9, s43, v5
	v_sub_u32_e32 v3, v6, v3
	v_sub_u32_e32 v1, v1, v8
	v_add_u32_e32 v8, v5, v9
	v_mul_lo_u32 v6, v3, s44
	v_mul_lo_u32 v7, v3, s46
	;; [unrolled: 1-line block ×6, first 2 shown]
	v_lshrrev_b32_e32 v8, s52, v8
	v_add3_u32 v0, v3, v0, v1
	v_add3_u32 v1, v7, v4, v10
	v_mul_hi_u32 v4, s54, v8
	v_add_u32_e32 v4, v8, v4
	v_add3_u32 v2, v6, v2, v9
	v_lshrrev_b32_e32 v6, s55, v4
	v_mul_lo_u32 v3, v8, s42
	v_mul_lo_u32 v4, v6, s53
	s_add_u32 s2, s2, 48
	v_sub_u32_e32 v3, v5, v3
	v_sub_u32_e32 v4, v8, v4
	s_addc_u32 s3, s3, 0
	v_mul_lo_u32 v5, v3, s50
	v_mul_lo_u32 v7, v3, s51
	;; [unrolled: 1-line block ×6, first 2 shown]
	s_cmp_eq_u32 s20, s72
	v_add3_u32 v2, v5, v2, v8
	v_add3_u32 v4, v3, v1, v4
	;; [unrolled: 1-line block ×3, first 2 shown]
	s_cbranch_scc0 .LBB9_62
; %bb.63:
	v_mov_b32_e32 v1, v4
	s_and_b32 s36, s71, 3
	s_cmp_eq_u32 s36, 0
	s_cbranch_scc0 .LBB9_66
	s_branch .LBB9_68
.LBB9_64:
                                        ; implicit-def: $vgpr4
                                        ; implicit-def: $vgpr0
                                        ; implicit-def: $vgpr2
	s_branch .LBB9_69
.LBB9_65:
	v_mov_b32_e32 v0, 0
	s_mov_b32 s20, 0
	v_mov_b32_e32 v1, v0
                                        ; implicit-def: $vgpr4
	v_mov_b32_e32 v6, v14
	v_mov_b32_e32 v2, v0
	s_and_b32 s36, s71, 3
	s_cmp_eq_u32 s36, 0
	s_cbranch_scc1 .LBB9_68
.LBB9_66:
	s_mul_i32 s2, s20, 12
	s_add_u32 s2, s27, s2
	s_addc_u32 s3, s33, 0
	s_add_u32 s2, s2, 4
	s_addc_u32 s3, s3, 0
.LBB9_67:                               ; =>This Inner Loop Header: Depth=1
	s_load_dwordx2 s[38:39], s[2:3], 0x0
	s_load_dword s20, s[2:3], 0x8
	s_load_dwordx2 s[40:41], s[2:3], 0xc0
	s_load_dword s37, s[2:3], 0xc8
	v_mov_b32_e32 v4, v1
	s_waitcnt lgkmcnt(0)
	v_mul_hi_u32 v1, s39, v6
	v_add_u32_e32 v1, v6, v1
	v_lshrrev_b32_e32 v1, s20, v1
	v_mul_lo_u32 v3, v1, s38
	s_add_u32 s2, s2, 12
	v_sub_u32_e32 v7, v6, v3
	s_addc_u32 s3, s3, 0
	s_add_i32 s36, s36, -1
	v_mov_b32_e32 v6, v1
	v_mad_u64_u32 v[4:5], s[38:39], v7, s37, v[4:5]
	v_mad_u64_u32 v[0:1], s[38:39], v7, s41, v[0:1]
	s_cmp_lg_u32 s36, 0
	v_mad_u64_u32 v[2:3], s[38:39], v7, s40, v[2:3]
	v_mov_b32_e32 v1, v4
	s_cbranch_scc1 .LBB9_67
.LBB9_68:
	s_cbranch_execnz .LBB9_71
.LBB9_69:
	v_mul_hi_u32 v0, s22, v14
	v_add_u32_e32 v0, v14, v0
	v_lshrrev_b32_e32 v1, s23, v0
	v_mul_lo_u32 v0, v1, s21
	v_sub_u32_e32 v0, v14, v0
	v_mul_lo_u32 v2, v0, s28
	v_mul_lo_u32 v4, v0, s30
	s_andn2_b64 vcc, exec, s[60:61]
	v_mul_lo_u32 v0, v0, s29
	s_cbranch_vccnz .LBB9_71
; %bb.70:
	v_mul_hi_u32 v3, s25, v1
	v_add_u32_e32 v3, v1, v3
	v_lshrrev_b32_e32 v3, s26, v3
	v_mul_lo_u32 v3, v3, s24
	v_sub_u32_e32 v5, v1, v3
	v_mad_u64_u32 v[2:3], s[2:3], v5, s31, v[2:3]
	v_mad_u64_u32 v[0:1], s[2:3], v5, s34, v[0:1]
	;; [unrolled: 1-line block ×3, first 2 shown]
.LBB9_71:
	global_load_dwordx2 v[4:5], v4, s[8:9]
	v_mov_b64_e32 v[6:7], 0
	s_waitcnt vmcnt(0)
	v_cmp_lt_i64_e32 vcc, s[10:11], v[4:5]
	s_and_saveexec_b64 s[36:37], vcc
	s_cbranch_execz .LBB9_77
; %bb.72:
	v_mov_b32_e32 v1, s11
	v_subrev_co_u32_e32 v8, vcc, s10, v4
	v_mov_b32_e32 v10, 0
	s_nop 0
	v_subb_co_u32_e32 v9, vcc, v5, v1, vcc
	v_or_b32_e32 v11, s13, v9
	v_cmp_ne_u64_e32 vcc, 0, v[10:11]
                                        ; implicit-def: $vgpr6_vgpr7
	s_and_saveexec_b64 s[2:3], vcc
	s_xor_b64 s[38:39], exec, s[2:3]
	s_cbranch_execz .LBB9_74
; %bb.73:
	s_ashr_i32 s40, s13, 31
	s_add_u32 s2, s12, s40
	s_mov_b32 s41, s40
	s_addc_u32 s3, s13, s40
	s_xor_b64 s[42:43], s[2:3], s[40:41]
	v_cvt_f32_u32_e32 v1, s42
	v_cvt_f32_u32_e32 v3, s43
	s_sub_u32 s20, 0, s42
	s_subb_u32 s41, 0, s43
	v_ashrrev_i32_e32 v6, 31, v9
	v_fmamk_f32 v1, v3, 0x4f800000, v1
	v_rcp_f32_e32 v1, v1
	v_mov_b32_e32 v7, v6
	v_lshl_add_u64 v[8:9], v[8:9], 0, v[6:7]
	v_mov_b32_e32 v13, v10
	v_mul_f32_e32 v1, 0x5f7ffffc, v1
	v_mul_f32_e32 v3, 0x2f800000, v1
	v_trunc_f32_e32 v3, v3
	v_fmamk_f32 v1, v3, 0xcf800000, v1
	v_cvt_u32_f32_e32 v3, v3
	v_cvt_u32_f32_e32 v1, v1
	v_readfirstlane_b32 s44, v3
	v_readfirstlane_b32 s2, v1
	s_mul_i32 s3, s20, s44
	s_mul_hi_u32 s46, s20, s2
	s_mul_i32 s45, s41, s2
	s_add_i32 s3, s46, s3
	s_add_i32 s3, s3, s45
	s_mul_i32 s47, s20, s2
	s_mul_i32 s46, s2, s3
	s_mul_hi_u32 s48, s2, s47
	s_mul_hi_u32 s45, s2, s3
	s_add_u32 s46, s48, s46
	s_addc_u32 s45, 0, s45
	s_mul_hi_u32 s49, s44, s47
	s_mul_i32 s47, s44, s47
	s_add_u32 s46, s46, s47
	s_mul_hi_u32 s48, s44, s3
	s_addc_u32 s45, s45, s49
	s_addc_u32 s46, s48, 0
	s_mul_i32 s3, s44, s3
	s_add_u32 s3, s45, s3
	s_addc_u32 s45, 0, s46
	s_add_u32 s46, s2, s3
	s_cselect_b64 s[2:3], -1, 0
	s_cmp_lg_u64 s[2:3], 0
	s_addc_u32 s44, s44, s45
	s_mul_i32 s2, s20, s44
	s_mul_hi_u32 s3, s20, s46
	s_add_i32 s2, s3, s2
	s_mul_i32 s41, s41, s46
	s_add_i32 s2, s2, s41
	s_mul_i32 s20, s20, s46
	s_mul_hi_u32 s41, s44, s20
	s_mul_i32 s45, s44, s20
	s_mul_i32 s48, s46, s2
	s_mul_hi_u32 s20, s46, s20
	s_mul_hi_u32 s47, s46, s2
	s_add_u32 s20, s20, s48
	s_addc_u32 s47, 0, s47
	s_add_u32 s20, s20, s45
	s_mul_hi_u32 s3, s44, s2
	s_addc_u32 s20, s47, s41
	s_addc_u32 s3, s3, 0
	s_mul_i32 s2, s44, s2
	s_add_u32 s2, s20, s2
	s_addc_u32 s20, 0, s3
	s_add_u32 s41, s46, s2
	s_cselect_b64 s[2:3], -1, 0
	s_cmp_lg_u64 s[2:3], 0
	s_addc_u32 s20, s44, s20
	v_xor_b32_e32 v3, v8, v6
	v_xor_b32_e32 v1, v9, v6
	v_mad_u64_u32 v[8:9], s[2:3], v3, s20, 0
	v_mul_hi_u32 v12, v3, s41
	v_lshl_add_u64 v[8:9], v[12:13], 0, v[8:9]
	v_mad_u64_u32 v[16:17], s[2:3], v1, s41, 0
	v_add_co_u32_e32 v7, vcc, v8, v16
	v_mad_u64_u32 v[12:13], s[2:3], v1, s20, 0
	s_nop 0
	v_addc_co_u32_e32 v8, vcc, v9, v17, vcc
	v_mov_b32_e32 v9, v10
	s_nop 0
	v_addc_co_u32_e32 v13, vcc, 0, v13, vcc
	v_lshl_add_u64 v[8:9], v[8:9], 0, v[12:13]
	v_mul_lo_u32 v7, s43, v8
	v_mul_lo_u32 v12, s42, v9
	v_mad_u64_u32 v[10:11], s[2:3], s42, v8, 0
	v_add3_u32 v7, v11, v12, v7
	v_sub_u32_e32 v11, v1, v7
	v_mov_b32_e32 v12, s43
	v_sub_co_u32_e32 v3, vcc, v3, v10
	s_nop 1
	v_subb_co_u32_e64 v10, s[2:3], v11, v12, vcc
	v_subrev_co_u32_e64 v11, s[2:3], s42, v3
	v_subb_co_u32_e32 v1, vcc, v1, v7, vcc
	s_nop 0
	v_subbrev_co_u32_e64 v10, s[2:3], 0, v10, s[2:3]
	v_cmp_le_u32_e64 s[2:3], s43, v10
	v_cmp_le_u32_e32 vcc, s43, v1
	s_nop 0
	v_cndmask_b32_e64 v12, 0, -1, s[2:3]
	v_cmp_le_u32_e64 s[2:3], s42, v11
	v_cndmask_b32_e64 v7, 0, -1, vcc
	v_cmp_le_u32_e32 vcc, s42, v3
	v_cndmask_b32_e64 v11, 0, -1, s[2:3]
	v_cmp_eq_u32_e64 s[2:3], s43, v10
	v_cndmask_b32_e64 v3, 0, -1, vcc
	v_cmp_eq_u32_e32 vcc, s43, v1
	v_cndmask_b32_e64 v15, v12, v11, s[2:3]
	v_lshl_add_u64 v[10:11], v[8:9], 0, 2
	v_lshl_add_u64 v[12:13], v[8:9], 0, 1
	v_cmp_ne_u32_e64 s[2:3], 0, v15
	v_cndmask_b32_e32 v1, v7, v3, vcc
	v_cmp_ne_u32_e32 vcc, 0, v1
	v_cndmask_b32_e64 v3, v12, v10, s[2:3]
	v_cndmask_b32_e64 v11, v13, v11, s[2:3]
	v_cndmask_b32_e32 v3, v8, v3, vcc
	v_xor_b32_e32 v7, s40, v6
	v_cndmask_b32_e32 v1, v9, v11, vcc
	v_xor_b32_e32 v3, v3, v7
	v_xor_b32_e32 v1, v1, v7
	v_sub_co_u32_e32 v6, vcc, v3, v7
                                        ; implicit-def: $vgpr8
	s_nop 1
	v_subb_co_u32_e32 v7, vcc, v1, v7, vcc
.LBB9_74:
	s_andn2_saveexec_b64 s[2:3], s[38:39]
	s_cbranch_execz .LBB9_76
; %bb.75:
	v_cvt_f32_u32_e32 v1, s12
	s_sub_i32 s20, 0, s12
	v_rcp_iflag_f32_e32 v1, v1
	s_nop 0
	v_mul_f32_e32 v1, 0x4f7ffffe, v1
	v_cvt_u32_f32_e32 v1, v1
	v_mul_lo_u32 v3, s20, v1
	v_mul_hi_u32 v3, v1, v3
	v_add_u32_e32 v1, v1, v3
	v_mul_hi_u32 v1, v8, v1
	v_mul_lo_u32 v3, v1, s12
	v_sub_u32_e32 v3, v8, v3
	v_add_u32_e32 v6, 1, v1
	v_subrev_u32_e32 v7, s12, v3
	v_cmp_le_u32_e32 vcc, s12, v3
	s_nop 1
	v_cndmask_b32_e32 v3, v3, v7, vcc
	v_cndmask_b32_e32 v1, v1, v6, vcc
	v_add_u32_e32 v6, 1, v1
	v_cmp_le_u32_e32 vcc, s12, v3
	v_mov_b32_e32 v7, 0
	s_nop 0
	v_cndmask_b32_e32 v6, v1, v6, vcc
.LBB9_76:
	s_or_b64 exec, exec, s[2:3]
.LBB9_77:
	s_or_b64 exec, exec, s[36:37]
	v_or_b32_e32 v9, s13, v5
	v_mov_b32_e32 v8, 0
	v_cmp_ne_u64_e32 vcc, 0, v[8:9]
                                        ; implicit-def: $vgpr10_vgpr11
	s_and_saveexec_b64 s[2:3], vcc
	s_xor_b64 s[36:37], exec, s[2:3]
	s_cbranch_execz .LBB9_79
; %bb.78:
	s_ashr_i32 s38, s13, 31
	s_add_u32 s2, s12, s38
	s_mov_b32 s39, s38
	s_addc_u32 s3, s13, s38
	s_xor_b64 s[40:41], s[2:3], s[38:39]
	v_cvt_f32_u32_e32 v1, s40
	v_cvt_f32_u32_e32 v3, s41
	s_sub_u32 s20, 0, s40
	s_subb_u32 s39, 0, s41
	v_ashrrev_i32_e32 v10, 31, v5
	v_fmamk_f32 v1, v3, 0x4f800000, v1
	v_rcp_f32_e32 v1, v1
	v_mov_b32_e32 v11, v10
	v_lshl_add_u64 v[12:13], v[4:5], 0, v[10:11]
	v_mov_b32_e32 v17, v8
	v_mul_f32_e32 v1, 0x5f7ffffc, v1
	v_mul_f32_e32 v3, 0x2f800000, v1
	v_trunc_f32_e32 v3, v3
	v_fmamk_f32 v1, v3, 0xcf800000, v1
	v_cvt_u32_f32_e32 v3, v3
	v_cvt_u32_f32_e32 v1, v1
	v_readfirstlane_b32 s42, v3
	v_readfirstlane_b32 s2, v1
	s_mul_i32 s3, s20, s42
	s_mul_hi_u32 s44, s20, s2
	s_mul_i32 s43, s39, s2
	s_add_i32 s3, s44, s3
	s_add_i32 s3, s3, s43
	s_mul_i32 s45, s20, s2
	s_mul_i32 s44, s2, s3
	s_mul_hi_u32 s46, s2, s45
	s_mul_hi_u32 s43, s2, s3
	s_add_u32 s44, s46, s44
	s_addc_u32 s43, 0, s43
	s_mul_hi_u32 s47, s42, s45
	s_mul_i32 s45, s42, s45
	s_add_u32 s44, s44, s45
	s_mul_hi_u32 s46, s42, s3
	s_addc_u32 s43, s43, s47
	s_addc_u32 s44, s46, 0
	s_mul_i32 s3, s42, s3
	s_add_u32 s3, s43, s3
	s_addc_u32 s43, 0, s44
	s_add_u32 s44, s2, s3
	s_cselect_b64 s[2:3], -1, 0
	s_cmp_lg_u64 s[2:3], 0
	s_addc_u32 s42, s42, s43
	s_mul_i32 s2, s20, s42
	s_mul_hi_u32 s3, s20, s44
	s_add_i32 s2, s3, s2
	s_mul_i32 s39, s39, s44
	s_add_i32 s2, s2, s39
	s_mul_i32 s20, s20, s44
	s_mul_hi_u32 s39, s42, s20
	s_mul_i32 s43, s42, s20
	s_mul_i32 s46, s44, s2
	s_mul_hi_u32 s20, s44, s20
	s_mul_hi_u32 s45, s44, s2
	s_add_u32 s20, s20, s46
	s_addc_u32 s45, 0, s45
	s_add_u32 s20, s20, s43
	s_mul_hi_u32 s3, s42, s2
	s_addc_u32 s20, s45, s39
	s_addc_u32 s3, s3, 0
	s_mul_i32 s2, s42, s2
	s_add_u32 s2, s20, s2
	s_addc_u32 s20, 0, s3
	s_add_u32 s39, s44, s2
	s_cselect_b64 s[2:3], -1, 0
	s_cmp_lg_u64 s[2:3], 0
	s_addc_u32 s20, s42, s20
	v_xor_b32_e32 v3, v12, v10
	v_xor_b32_e32 v1, v13, v10
	v_mad_u64_u32 v[12:13], s[2:3], v3, s20, 0
	v_mul_hi_u32 v16, v3, s39
	v_lshl_add_u64 v[12:13], v[16:17], 0, v[12:13]
	v_mad_u64_u32 v[18:19], s[2:3], v1, s39, 0
	v_add_co_u32_e32 v9, vcc, v12, v18
	v_mad_u64_u32 v[16:17], s[2:3], v1, s20, 0
	s_nop 0
	v_addc_co_u32_e32 v12, vcc, v13, v19, vcc
	v_mov_b32_e32 v13, v8
	s_nop 0
	v_addc_co_u32_e32 v17, vcc, 0, v17, vcc
	v_lshl_add_u64 v[8:9], v[12:13], 0, v[16:17]
	v_mul_lo_u32 v11, s41, v8
	v_mul_lo_u32 v15, s40, v9
	v_mad_u64_u32 v[12:13], s[2:3], s40, v8, 0
	v_add3_u32 v11, v13, v15, v11
	v_sub_u32_e32 v13, v1, v11
	v_mov_b32_e32 v15, s41
	v_sub_co_u32_e32 v3, vcc, v3, v12
	v_lshl_add_u64 v[16:17], v[8:9], 0, 1
	s_nop 0
	v_subb_co_u32_e64 v12, s[2:3], v13, v15, vcc
	v_subrev_co_u32_e64 v13, s[2:3], s40, v3
	v_subb_co_u32_e32 v1, vcc, v1, v11, vcc
	s_nop 0
	v_subbrev_co_u32_e64 v12, s[2:3], 0, v12, s[2:3]
	v_cmp_le_u32_e64 s[2:3], s41, v12
	v_cmp_le_u32_e32 vcc, s41, v1
	s_nop 0
	v_cndmask_b32_e64 v15, 0, -1, s[2:3]
	v_cmp_le_u32_e64 s[2:3], s40, v13
	v_cndmask_b32_e64 v11, 0, -1, vcc
	v_cmp_le_u32_e32 vcc, s40, v3
	v_cndmask_b32_e64 v13, 0, -1, s[2:3]
	v_cmp_eq_u32_e64 s[2:3], s41, v12
	v_cndmask_b32_e64 v3, 0, -1, vcc
	v_cmp_eq_u32_e32 vcc, s41, v1
	v_cndmask_b32_e64 v15, v15, v13, s[2:3]
	v_lshl_add_u64 v[12:13], v[8:9], 0, 2
	v_cmp_ne_u32_e64 s[2:3], 0, v15
	v_cndmask_b32_e32 v1, v11, v3, vcc
	v_cmp_ne_u32_e32 vcc, 0, v1
	v_cndmask_b32_e64 v3, v16, v12, s[2:3]
	v_cndmask_b32_e64 v13, v17, v13, s[2:3]
	v_cndmask_b32_e32 v3, v8, v3, vcc
	v_xor_b32_e32 v8, s38, v10
	v_cndmask_b32_e32 v1, v9, v13, vcc
	v_xor_b32_e32 v3, v3, v8
	v_xor_b32_e32 v1, v1, v8
	v_sub_co_u32_e32 v10, vcc, v3, v8
	s_nop 1
	v_subb_co_u32_e32 v11, vcc, v1, v8, vcc
.LBB9_79:
	s_andn2_saveexec_b64 s[2:3], s[36:37]
	s_cbranch_execz .LBB9_81
; %bb.80:
	v_cvt_f32_u32_e32 v1, s12
	s_sub_i32 s20, 0, s12
	v_mov_b32_e32 v11, 0
	v_rcp_iflag_f32_e32 v1, v1
	s_nop 0
	v_mul_f32_e32 v1, 0x4f7ffffe, v1
	v_cvt_u32_f32_e32 v1, v1
	v_mul_lo_u32 v3, s20, v1
	v_mul_hi_u32 v3, v1, v3
	v_add_u32_e32 v1, v1, v3
	v_mul_hi_u32 v1, v4, v1
	v_mul_lo_u32 v3, v1, s12
	v_sub_u32_e32 v3, v4, v3
	v_add_u32_e32 v8, 1, v1
	v_subrev_u32_e32 v9, s12, v3
	v_cmp_le_u32_e32 vcc, s12, v3
	s_nop 1
	v_cndmask_b32_e32 v3, v3, v9, vcc
	v_cndmask_b32_e32 v1, v1, v8, vcc
	v_add_u32_e32 v8, 1, v1
	v_cmp_le_u32_e32 vcc, s12, v3
	s_nop 1
	v_cndmask_b32_e32 v10, v1, v8, vcc
.LBB9_81:
	s_or_b64 exec, exec, s[2:3]
	v_mul_lo_u32 v1, v7, s12
	v_mul_lo_u32 v3, v6, s13
	v_mad_u64_u32 v[8:9], s[2:3], v6, s12, 0
	v_add3_u32 v9, v9, v3, v1
	v_cmp_gt_i64_e32 vcc, v[8:9], v[4:5]
	v_mov_b64_e32 v[8:9], s[10:11]
	v_mad_u64_u32 v[8:9], s[2:3], v6, s12, v[8:9]
	v_add3_u32 v9, v1, v9, v3
	v_cmp_ge_i64_e64 s[2:3], v[4:5], v[8:9]
	s_or_b64 s[2:3], vcc, s[2:3]
	v_mov_b32_e32 v1, s15
	v_cndmask_b32_e64 v8, 0, 1, s[2:3]
	s_mov_b32 s2, 0
	v_mov_b32_e32 v9, s2
	v_cmp_gt_i64_e32 vcc, s[14:15], v[10:11]
	v_lshl_add_u64 v[12:13], v[6:7], 0, v[8:9]
	s_nop 0
	v_cndmask_b32_e32 v7, v1, v11, vcc
	v_mov_b32_e32 v1, s14
	v_cndmask_b32_e32 v6, v1, v10, vcc
	v_cmp_le_i64_e32 vcc, v[12:13], v[6:7]
	s_and_saveexec_b64 s[2:3], vcc
	s_cbranch_execz .LBB9_84
; %bb.82:
	global_load_ushort v10, v2, s[4:5]
	v_mul_lo_u32 v11, s13, v12
	v_mul_lo_u32 v15, s12, v13
	v_mad_u64_u32 v[16:17], s[36:37], s12, v12, 0
	v_add3_u32 v11, v17, v15, v11
	v_sub_co_u32_e32 v4, vcc, v4, v16
	v_mov_b32_e32 v3, 0
	s_nop 0
	v_subb_co_u32_e32 v5, vcc, v5, v11, vcc
	v_mul_lo_u32 v11, s19, v4
	v_mul_lo_u32 v15, s18, v5
	v_mad_u64_u32 v[4:5], s[36:37], s18, v4, 0
	v_lshl_add_u64 v[8:9], s[4:5], 0, v[2:3]
	v_mov_b32_e32 v1, v3
	v_lshl_add_u64 v[2:3], v[12:13], 0, -1
	v_add3_u32 v5, v5, v15, v11
	v_mul_lo_u32 v11, s17, v12
	v_mul_lo_u32 v15, s16, v13
	v_mad_u64_u32 v[12:13], s[36:37], s16, v12, 0
	s_mul_i32 s20, s12, s19
	s_mul_hi_u32 s38, s12, s18
	v_add3_u32 v13, v13, v15, v11
	s_add_i32 s20, s38, s20
	s_mul_i32 s38, s13, s18
	v_lshlrev_b64 v[12:13], 1, v[12:13]
	s_add_i32 s39, s20, s38
	s_mul_i32 s38, s12, s18
	v_lshl_add_u64 v[4:5], v[4:5], 1, v[12:13]
	s_lshl_b64 s[36:37], s[16:17], 1
	s_lshl_b64 s[38:39], s[38:39], 1
	v_lshl_add_u64 v[0:1], v[4:5], 0, v[0:1]
	s_sub_u32 s36, s36, s38
	v_lshl_add_u64 v[0:1], s[6:7], 0, v[0:1]
	s_subb_u32 s37, s37, s39
	s_mov_b64 s[38:39], 0
.LBB9_83:                               ; =>This Inner Loop Header: Depth=1
	global_load_ushort v4, v[0:1], off
	v_lshl_add_u64 v[2:3], v[2:3], 0, 1
	v_cmp_ge_i64_e32 vcc, v[2:3], v[6:7]
	v_lshl_add_u64 v[0:1], v[0:1], 0, s[36:37]
	s_or_b64 s[38:39], vcc, s[38:39]
	s_waitcnt vmcnt(0)
	v_add_f16_e32 v10, v10, v4
	global_store_short v[8:9], v10, off
	s_andn2_b64 exec, exec, s[38:39]
	s_cbranch_execnz .LBB9_83
.LBB9_84:
	s_or_b64 exec, exec, s[2:3]
	v_add_u32_e32 v14, 0x100, v14
	s_or_b64 exec, exec, s[66:67]
	v_cmp_gt_i32_e32 vcc, s70, v14
	s_and_saveexec_b64 s[2:3], vcc
	s_cbranch_execz .LBB9_111
.LBB9_85:
	s_and_b64 vcc, exec, s[0:1]
	s_cbranch_vccnz .LBB9_91
; %bb.86:
	v_mov_b32_e32 v4, 0
	s_andn2_b64 vcc, exec, s[64:65]
	v_mov_b32_e32 v0, 0
	v_mov_b32_e32 v2, 0
	s_cbranch_vccnz .LBB9_95
; %bb.87:
	s_add_i32 s69, s69, 1
	s_cmp_eq_u32 s68, 2
	s_cbranch_scc1 .LBB9_92
; %bb.88:
	s_and_b32 s20, s69, 28
	v_mov_b32_e32 v2, 0
	s_mov_b32 s56, 0
	v_mov_b32_e32 v6, v14
	v_mov_b32_e32 v0, 0
	;; [unrolled: 1-line block ×3, first 2 shown]
.LBB9_89:                               ; =>This Inner Loop Header: Depth=1
	s_load_dwordx8 s[36:43], s[62:63], 0x0
	s_load_dwordx4 s[0:3], s[62:63], 0x20
	s_load_dwordx4 s[52:55], s[62:63], 0xe0
	s_load_dwordx8 s[44:51], s[62:63], 0xc0
	s_add_i32 s56, s56, 4
	s_waitcnt lgkmcnt(0)
	v_mul_hi_u32 v1, s37, v6
	v_add_u32_e32 v1, v6, v1
	v_lshrrev_b32_e32 v1, s38, v1
	v_mul_hi_u32 v5, s40, v1
	v_add_u32_e32 v5, v1, v5
	v_lshrrev_b32_e32 v5, s41, v5
	v_mul_lo_u32 v3, v1, s36
	v_mul_lo_u32 v8, v5, s39
	v_mul_hi_u32 v9, s43, v5
	v_sub_u32_e32 v3, v6, v3
	v_sub_u32_e32 v1, v1, v8
	v_add_u32_e32 v8, v5, v9
	v_mul_lo_u32 v6, v3, s44
	v_mul_lo_u32 v7, v3, s46
	;; [unrolled: 1-line block ×6, first 2 shown]
	v_lshrrev_b32_e32 v8, s0, v8
	v_add3_u32 v0, v3, v0, v1
	v_add3_u32 v1, v7, v4, v10
	v_mul_hi_u32 v4, s2, v8
	v_add_u32_e32 v4, v8, v4
	v_add3_u32 v2, v6, v2, v9
	v_lshrrev_b32_e32 v6, s3, v4
	v_mul_lo_u32 v3, v8, s42
	v_mul_lo_u32 v4, v6, s1
	s_add_u32 s62, s62, 48
	v_sub_u32_e32 v3, v5, v3
	v_sub_u32_e32 v4, v8, v4
	s_addc_u32 s63, s63, 0
	v_mul_lo_u32 v5, v3, s50
	v_mul_lo_u32 v7, v3, s51
	;; [unrolled: 1-line block ×6, first 2 shown]
	s_cmp_eq_u32 s20, s56
	v_add3_u32 v2, v5, v2, v8
	v_add3_u32 v4, v3, v1, v4
	;; [unrolled: 1-line block ×3, first 2 shown]
	s_cbranch_scc0 .LBB9_89
; %bb.90:
	v_mov_b32_e32 v1, v4
	s_and_b32 s2, s69, 3
	s_cmp_eq_u32 s2, 0
	s_cbranch_scc0 .LBB9_93
	s_branch .LBB9_95
.LBB9_91:
                                        ; implicit-def: $vgpr4
                                        ; implicit-def: $vgpr0
                                        ; implicit-def: $vgpr2
	s_branch .LBB9_96
.LBB9_92:
	v_mov_b32_e32 v0, 0
	s_mov_b32 s20, 0
	v_mov_b32_e32 v1, v0
                                        ; implicit-def: $vgpr4
	v_mov_b32_e32 v6, v14
	v_mov_b32_e32 v2, v0
	s_and_b32 s2, s69, 3
	s_cmp_eq_u32 s2, 0
	s_cbranch_scc1 .LBB9_95
.LBB9_93:
	s_mul_i32 s0, s20, 12
	s_add_u32 s0, s27, s0
	s_addc_u32 s1, s33, 0
	s_add_u32 s0, s0, 4
	s_addc_u32 s1, s1, 0
.LBB9_94:                               ; =>This Inner Loop Header: Depth=1
	s_load_dwordx2 s[36:37], s[0:1], 0x0
	s_load_dword s3, s[0:1], 0x8
	s_load_dwordx2 s[38:39], s[0:1], 0xc0
	s_load_dword s20, s[0:1], 0xc8
	v_mov_b32_e32 v4, v1
	s_waitcnt lgkmcnt(0)
	v_mul_hi_u32 v1, s37, v6
	v_add_u32_e32 v1, v6, v1
	v_lshrrev_b32_e32 v1, s3, v1
	v_mul_lo_u32 v3, v1, s36
	s_add_u32 s0, s0, 12
	v_sub_u32_e32 v7, v6, v3
	s_addc_u32 s1, s1, 0
	s_add_i32 s2, s2, -1
	v_mov_b32_e32 v6, v1
	v_mad_u64_u32 v[4:5], s[36:37], v7, s20, v[4:5]
	v_mad_u64_u32 v[0:1], s[36:37], v7, s39, v[0:1]
	s_cmp_lg_u32 s2, 0
	v_mad_u64_u32 v[2:3], s[36:37], v7, s38, v[2:3]
	v_mov_b32_e32 v1, v4
	s_cbranch_scc1 .LBB9_94
.LBB9_95:
	s_cbranch_execnz .LBB9_98
.LBB9_96:
	v_mul_hi_u32 v0, s22, v14
	v_add_u32_e32 v0, v14, v0
	v_lshrrev_b32_e32 v1, s23, v0
	v_mul_lo_u32 v0, v1, s21
	v_sub_u32_e32 v0, v14, v0
	v_mul_lo_u32 v2, v0, s28
	v_mul_lo_u32 v4, v0, s30
	s_andn2_b64 vcc, exec, s[60:61]
	v_mul_lo_u32 v0, v0, s29
	s_cbranch_vccnz .LBB9_98
; %bb.97:
	v_mul_hi_u32 v3, s25, v1
	v_add_u32_e32 v3, v1, v3
	v_lshrrev_b32_e32 v3, s26, v3
	v_mul_lo_u32 v3, v3, s24
	v_sub_u32_e32 v5, v1, v3
	v_mad_u64_u32 v[2:3], s[0:1], v5, s31, v[2:3]
	v_mad_u64_u32 v[0:1], s[0:1], v5, s34, v[0:1]
	;; [unrolled: 1-line block ×3, first 2 shown]
.LBB9_98:
	global_load_dwordx2 v[4:5], v4, s[8:9]
	v_mov_b64_e32 v[6:7], 0
	s_waitcnt vmcnt(0)
	v_cmp_lt_i64_e32 vcc, s[10:11], v[4:5]
	s_and_saveexec_b64 s[2:3], vcc
	s_cbranch_execz .LBB9_104
; %bb.99:
	v_mov_b32_e32 v1, s11
	v_subrev_co_u32_e32 v8, vcc, s10, v4
	v_mov_b32_e32 v10, 0
	s_nop 0
	v_subb_co_u32_e32 v9, vcc, v5, v1, vcc
	v_or_b32_e32 v11, s13, v9
	v_cmp_ne_u64_e32 vcc, 0, v[10:11]
                                        ; implicit-def: $vgpr6_vgpr7
	s_and_saveexec_b64 s[0:1], vcc
	s_xor_b64 s[8:9], exec, s[0:1]
	s_cbranch_execz .LBB9_101
; %bb.100:
	s_ashr_i32 s20, s13, 31
	s_add_u32 s0, s12, s20
	s_mov_b32 s21, s20
	s_addc_u32 s1, s13, s20
	s_xor_b64 s[22:23], s[0:1], s[20:21]
	v_cvt_f32_u32_e32 v1, s22
	v_cvt_f32_u32_e32 v3, s23
	s_sub_u32 s21, 0, s22
	s_subb_u32 s24, 0, s23
	v_ashrrev_i32_e32 v6, 31, v9
	v_fmamk_f32 v1, v3, 0x4f800000, v1
	v_rcp_f32_e32 v1, v1
	v_mov_b32_e32 v7, v6
	v_lshl_add_u64 v[8:9], v[8:9], 0, v[6:7]
	v_mov_b32_e32 v13, v10
	v_mul_f32_e32 v1, 0x5f7ffffc, v1
	v_mul_f32_e32 v3, 0x2f800000, v1
	v_trunc_f32_e32 v3, v3
	v_fmamk_f32 v1, v3, 0xcf800000, v1
	v_cvt_u32_f32_e32 v3, v3
	v_cvt_u32_f32_e32 v1, v1
	v_readfirstlane_b32 s25, v3
	v_readfirstlane_b32 s0, v1
	s_mul_i32 s1, s21, s25
	s_mul_hi_u32 s27, s21, s0
	s_mul_i32 s26, s24, s0
	s_add_i32 s1, s27, s1
	s_add_i32 s1, s1, s26
	s_mul_i32 s28, s21, s0
	s_mul_i32 s27, s0, s1
	s_mul_hi_u32 s29, s0, s28
	s_mul_hi_u32 s26, s0, s1
	s_add_u32 s27, s29, s27
	s_addc_u32 s26, 0, s26
	s_mul_hi_u32 s30, s25, s28
	s_mul_i32 s28, s25, s28
	s_add_u32 s27, s27, s28
	s_mul_hi_u32 s29, s25, s1
	s_addc_u32 s26, s26, s30
	s_addc_u32 s27, s29, 0
	s_mul_i32 s1, s25, s1
	s_add_u32 s1, s26, s1
	s_addc_u32 s26, 0, s27
	s_add_u32 s27, s0, s1
	s_cselect_b64 s[0:1], -1, 0
	s_cmp_lg_u64 s[0:1], 0
	s_addc_u32 s25, s25, s26
	s_mul_i32 s0, s21, s25
	s_mul_hi_u32 s1, s21, s27
	s_add_i32 s0, s1, s0
	s_mul_i32 s24, s24, s27
	s_add_i32 s0, s0, s24
	s_mul_i32 s21, s21, s27
	s_mul_hi_u32 s24, s25, s21
	s_mul_i32 s26, s25, s21
	s_mul_i32 s29, s27, s0
	s_mul_hi_u32 s21, s27, s21
	s_mul_hi_u32 s28, s27, s0
	s_add_u32 s21, s21, s29
	s_addc_u32 s28, 0, s28
	s_add_u32 s21, s21, s26
	s_mul_hi_u32 s1, s25, s0
	s_addc_u32 s21, s28, s24
	s_addc_u32 s1, s1, 0
	s_mul_i32 s0, s25, s0
	s_add_u32 s0, s21, s0
	s_addc_u32 s21, 0, s1
	s_add_u32 s24, s27, s0
	s_cselect_b64 s[0:1], -1, 0
	s_cmp_lg_u64 s[0:1], 0
	s_addc_u32 s21, s25, s21
	v_xor_b32_e32 v3, v8, v6
	v_xor_b32_e32 v1, v9, v6
	v_mad_u64_u32 v[8:9], s[0:1], v3, s21, 0
	v_mul_hi_u32 v12, v3, s24
	v_lshl_add_u64 v[8:9], v[12:13], 0, v[8:9]
	v_mad_u64_u32 v[14:15], s[0:1], v1, s24, 0
	v_add_co_u32_e32 v7, vcc, v8, v14
	v_mad_u64_u32 v[12:13], s[0:1], v1, s21, 0
	s_nop 0
	v_addc_co_u32_e32 v8, vcc, v9, v15, vcc
	v_mov_b32_e32 v9, v10
	s_nop 0
	v_addc_co_u32_e32 v13, vcc, 0, v13, vcc
	v_lshl_add_u64 v[8:9], v[8:9], 0, v[12:13]
	v_mul_lo_u32 v7, s23, v8
	v_mul_lo_u32 v12, s22, v9
	v_mad_u64_u32 v[10:11], s[0:1], s22, v8, 0
	v_add3_u32 v7, v11, v12, v7
	v_sub_u32_e32 v11, v1, v7
	v_mov_b32_e32 v12, s23
	v_sub_co_u32_e32 v3, vcc, v3, v10
	s_nop 1
	v_subb_co_u32_e64 v10, s[0:1], v11, v12, vcc
	v_subrev_co_u32_e64 v11, s[0:1], s22, v3
	v_subb_co_u32_e32 v1, vcc, v1, v7, vcc
	s_nop 0
	v_subbrev_co_u32_e64 v10, s[0:1], 0, v10, s[0:1]
	v_cmp_le_u32_e64 s[0:1], s23, v10
	v_cmp_le_u32_e32 vcc, s23, v1
	s_nop 0
	v_cndmask_b32_e64 v12, 0, -1, s[0:1]
	v_cmp_le_u32_e64 s[0:1], s22, v11
	v_cndmask_b32_e64 v7, 0, -1, vcc
	v_cmp_le_u32_e32 vcc, s22, v3
	v_cndmask_b32_e64 v11, 0, -1, s[0:1]
	v_cmp_eq_u32_e64 s[0:1], s23, v10
	v_cndmask_b32_e64 v3, 0, -1, vcc
	v_cmp_eq_u32_e32 vcc, s23, v1
	v_cndmask_b32_e64 v14, v12, v11, s[0:1]
	v_lshl_add_u64 v[10:11], v[8:9], 0, 2
	v_lshl_add_u64 v[12:13], v[8:9], 0, 1
	v_cmp_ne_u32_e64 s[0:1], 0, v14
	v_cndmask_b32_e32 v1, v7, v3, vcc
	v_cmp_ne_u32_e32 vcc, 0, v1
	v_cndmask_b32_e64 v3, v12, v10, s[0:1]
	v_cndmask_b32_e64 v11, v13, v11, s[0:1]
	v_cndmask_b32_e32 v3, v8, v3, vcc
	v_xor_b32_e32 v7, s20, v6
	v_cndmask_b32_e32 v1, v9, v11, vcc
	v_xor_b32_e32 v3, v3, v7
	v_xor_b32_e32 v1, v1, v7
	v_sub_co_u32_e32 v6, vcc, v3, v7
                                        ; implicit-def: $vgpr8
	s_nop 1
	v_subb_co_u32_e32 v7, vcc, v1, v7, vcc
.LBB9_101:
	s_andn2_saveexec_b64 s[0:1], s[8:9]
	s_cbranch_execz .LBB9_103
; %bb.102:
	v_cvt_f32_u32_e32 v1, s12
	s_sub_i32 s8, 0, s12
	v_rcp_iflag_f32_e32 v1, v1
	s_nop 0
	v_mul_f32_e32 v1, 0x4f7ffffe, v1
	v_cvt_u32_f32_e32 v1, v1
	v_mul_lo_u32 v3, s8, v1
	v_mul_hi_u32 v3, v1, v3
	v_add_u32_e32 v1, v1, v3
	v_mul_hi_u32 v1, v8, v1
	v_mul_lo_u32 v3, v1, s12
	v_sub_u32_e32 v3, v8, v3
	v_add_u32_e32 v6, 1, v1
	v_subrev_u32_e32 v7, s12, v3
	v_cmp_le_u32_e32 vcc, s12, v3
	s_nop 1
	v_cndmask_b32_e32 v3, v3, v7, vcc
	v_cndmask_b32_e32 v1, v1, v6, vcc
	v_add_u32_e32 v6, 1, v1
	v_cmp_le_u32_e32 vcc, s12, v3
	v_mov_b32_e32 v7, 0
	s_nop 0
	v_cndmask_b32_e32 v6, v1, v6, vcc
.LBB9_103:
	s_or_b64 exec, exec, s[0:1]
.LBB9_104:
	s_or_b64 exec, exec, s[2:3]
	v_or_b32_e32 v9, s13, v5
	v_mov_b32_e32 v8, 0
	v_cmp_ne_u64_e32 vcc, 0, v[8:9]
                                        ; implicit-def: $vgpr10_vgpr11
	s_and_saveexec_b64 s[0:1], vcc
	s_xor_b64 s[2:3], exec, s[0:1]
	s_cbranch_execz .LBB9_106
; %bb.105:
	s_ashr_i32 s8, s13, 31
	s_add_u32 s0, s12, s8
	s_mov_b32 s9, s8
	s_addc_u32 s1, s13, s8
	s_xor_b64 s[20:21], s[0:1], s[8:9]
	v_cvt_f32_u32_e32 v1, s20
	v_cvt_f32_u32_e32 v3, s21
	s_sub_u32 s9, 0, s20
	s_subb_u32 s22, 0, s21
	v_ashrrev_i32_e32 v10, 31, v5
	v_fmamk_f32 v1, v3, 0x4f800000, v1
	v_rcp_f32_e32 v1, v1
	v_mov_b32_e32 v11, v10
	v_lshl_add_u64 v[12:13], v[4:5], 0, v[10:11]
	v_mov_b32_e32 v15, v8
	v_mul_f32_e32 v1, 0x5f7ffffc, v1
	v_mul_f32_e32 v3, 0x2f800000, v1
	v_trunc_f32_e32 v3, v3
	v_fmamk_f32 v1, v3, 0xcf800000, v1
	v_cvt_u32_f32_e32 v3, v3
	v_cvt_u32_f32_e32 v1, v1
	v_readfirstlane_b32 s23, v3
	v_readfirstlane_b32 s0, v1
	s_mul_i32 s1, s9, s23
	s_mul_hi_u32 s25, s9, s0
	s_mul_i32 s24, s22, s0
	s_add_i32 s1, s25, s1
	s_add_i32 s1, s1, s24
	s_mul_i32 s26, s9, s0
	s_mul_i32 s25, s0, s1
	s_mul_hi_u32 s27, s0, s26
	s_mul_hi_u32 s24, s0, s1
	s_add_u32 s25, s27, s25
	s_addc_u32 s24, 0, s24
	s_mul_hi_u32 s28, s23, s26
	s_mul_i32 s26, s23, s26
	s_add_u32 s25, s25, s26
	s_mul_hi_u32 s27, s23, s1
	s_addc_u32 s24, s24, s28
	s_addc_u32 s25, s27, 0
	s_mul_i32 s1, s23, s1
	s_add_u32 s1, s24, s1
	s_addc_u32 s24, 0, s25
	s_add_u32 s25, s0, s1
	s_cselect_b64 s[0:1], -1, 0
	s_cmp_lg_u64 s[0:1], 0
	s_addc_u32 s23, s23, s24
	s_mul_i32 s0, s9, s23
	s_mul_hi_u32 s1, s9, s25
	s_add_i32 s0, s1, s0
	s_mul_i32 s22, s22, s25
	s_add_i32 s0, s0, s22
	s_mul_i32 s9, s9, s25
	s_mul_hi_u32 s22, s23, s9
	s_mul_i32 s24, s23, s9
	s_mul_i32 s27, s25, s0
	s_mul_hi_u32 s9, s25, s9
	s_mul_hi_u32 s26, s25, s0
	s_add_u32 s9, s9, s27
	s_addc_u32 s26, 0, s26
	s_add_u32 s9, s9, s24
	s_mul_hi_u32 s1, s23, s0
	s_addc_u32 s9, s26, s22
	s_addc_u32 s1, s1, 0
	s_mul_i32 s0, s23, s0
	s_add_u32 s0, s9, s0
	s_addc_u32 s9, 0, s1
	s_add_u32 s22, s25, s0
	s_cselect_b64 s[0:1], -1, 0
	s_cmp_lg_u64 s[0:1], 0
	s_addc_u32 s9, s23, s9
	v_xor_b32_e32 v3, v12, v10
	v_xor_b32_e32 v1, v13, v10
	v_mad_u64_u32 v[12:13], s[0:1], v3, s9, 0
	v_mul_hi_u32 v14, v3, s22
	v_lshl_add_u64 v[12:13], v[14:15], 0, v[12:13]
	v_mad_u64_u32 v[16:17], s[0:1], v1, s22, 0
	v_add_co_u32_e32 v9, vcc, v12, v16
	v_mad_u64_u32 v[14:15], s[0:1], v1, s9, 0
	s_nop 0
	v_addc_co_u32_e32 v12, vcc, v13, v17, vcc
	v_mov_b32_e32 v13, v8
	s_nop 0
	v_addc_co_u32_e32 v15, vcc, 0, v15, vcc
	v_lshl_add_u64 v[8:9], v[12:13], 0, v[14:15]
	v_mul_lo_u32 v11, s21, v8
	v_mul_lo_u32 v14, s20, v9
	v_mad_u64_u32 v[12:13], s[0:1], s20, v8, 0
	v_add3_u32 v11, v13, v14, v11
	v_sub_u32_e32 v13, v1, v11
	v_mov_b32_e32 v14, s21
	v_sub_co_u32_e32 v3, vcc, v3, v12
	s_nop 1
	v_subb_co_u32_e64 v12, s[0:1], v13, v14, vcc
	v_subrev_co_u32_e64 v13, s[0:1], s20, v3
	v_subb_co_u32_e32 v1, vcc, v1, v11, vcc
	s_nop 0
	v_subbrev_co_u32_e64 v12, s[0:1], 0, v12, s[0:1]
	v_cmp_le_u32_e64 s[0:1], s21, v12
	v_cmp_le_u32_e32 vcc, s21, v1
	s_nop 0
	v_cndmask_b32_e64 v14, 0, -1, s[0:1]
	v_cmp_le_u32_e64 s[0:1], s20, v13
	v_cndmask_b32_e64 v11, 0, -1, vcc
	v_cmp_le_u32_e32 vcc, s20, v3
	v_cndmask_b32_e64 v13, 0, -1, s[0:1]
	v_cmp_eq_u32_e64 s[0:1], s21, v12
	v_cndmask_b32_e64 v3, 0, -1, vcc
	v_cmp_eq_u32_e32 vcc, s21, v1
	v_cndmask_b32_e64 v16, v14, v13, s[0:1]
	v_lshl_add_u64 v[12:13], v[8:9], 0, 2
	v_lshl_add_u64 v[14:15], v[8:9], 0, 1
	v_cmp_ne_u32_e64 s[0:1], 0, v16
	v_cndmask_b32_e32 v1, v11, v3, vcc
	v_cmp_ne_u32_e32 vcc, 0, v1
	v_cndmask_b32_e64 v3, v14, v12, s[0:1]
	v_cndmask_b32_e64 v13, v15, v13, s[0:1]
	v_cndmask_b32_e32 v3, v8, v3, vcc
	v_xor_b32_e32 v8, s8, v10
	v_cndmask_b32_e32 v1, v9, v13, vcc
	v_xor_b32_e32 v3, v3, v8
	v_xor_b32_e32 v1, v1, v8
	v_sub_co_u32_e32 v10, vcc, v3, v8
	s_nop 1
	v_subb_co_u32_e32 v11, vcc, v1, v8, vcc
.LBB9_106:
	s_andn2_saveexec_b64 s[0:1], s[2:3]
	s_cbranch_execz .LBB9_108
; %bb.107:
	v_cvt_f32_u32_e32 v1, s12
	s_sub_i32 s2, 0, s12
	v_mov_b32_e32 v11, 0
	v_rcp_iflag_f32_e32 v1, v1
	s_nop 0
	v_mul_f32_e32 v1, 0x4f7ffffe, v1
	v_cvt_u32_f32_e32 v1, v1
	v_mul_lo_u32 v3, s2, v1
	v_mul_hi_u32 v3, v1, v3
	v_add_u32_e32 v1, v1, v3
	v_mul_hi_u32 v1, v4, v1
	v_mul_lo_u32 v3, v1, s12
	v_sub_u32_e32 v3, v4, v3
	v_add_u32_e32 v8, 1, v1
	v_subrev_u32_e32 v9, s12, v3
	v_cmp_le_u32_e32 vcc, s12, v3
	s_nop 1
	v_cndmask_b32_e32 v3, v3, v9, vcc
	v_cndmask_b32_e32 v1, v1, v8, vcc
	v_add_u32_e32 v8, 1, v1
	v_cmp_le_u32_e32 vcc, s12, v3
	s_nop 1
	v_cndmask_b32_e32 v10, v1, v8, vcc
.LBB9_108:
	s_or_b64 exec, exec, s[0:1]
	v_mul_lo_u32 v1, v7, s12
	v_mul_lo_u32 v3, v6, s13
	v_mad_u64_u32 v[8:9], s[0:1], v6, s12, 0
	v_add3_u32 v9, v9, v3, v1
	v_cmp_gt_i64_e32 vcc, v[8:9], v[4:5]
	v_mov_b64_e32 v[8:9], s[10:11]
	v_mad_u64_u32 v[8:9], s[0:1], v6, s12, v[8:9]
	v_add3_u32 v9, v1, v9, v3
	v_cmp_ge_i64_e64 s[0:1], v[4:5], v[8:9]
	s_or_b64 s[0:1], vcc, s[0:1]
	v_mov_b32_e32 v1, s15
	v_cndmask_b32_e64 v8, 0, 1, s[0:1]
	s_mov_b32 s0, 0
	v_mov_b32_e32 v9, s0
	v_cmp_gt_i64_e32 vcc, s[14:15], v[10:11]
	v_lshl_add_u64 v[12:13], v[6:7], 0, v[8:9]
	s_nop 0
	v_cndmask_b32_e32 v7, v1, v11, vcc
	v_mov_b32_e32 v1, s14
	v_cndmask_b32_e32 v6, v1, v10, vcc
	v_cmp_le_i64_e32 vcc, v[12:13], v[6:7]
	s_and_b64 exec, exec, vcc
	s_cbranch_execz .LBB9_111
; %bb.109:
	global_load_ushort v10, v2, s[4:5]
	v_mul_lo_u32 v11, s13, v12
	v_mul_lo_u32 v16, s12, v13
	v_mad_u64_u32 v[14:15], s[0:1], s12, v12, 0
	v_add3_u32 v11, v15, v16, v11
	v_sub_co_u32_e32 v4, vcc, v4, v14
	v_mov_b32_e32 v3, 0
	s_nop 0
	v_subb_co_u32_e32 v5, vcc, v5, v11, vcc
	v_mul_lo_u32 v11, s19, v4
	v_mul_lo_u32 v14, s18, v5
	v_mad_u64_u32 v[4:5], s[0:1], s18, v4, 0
	v_lshl_add_u64 v[8:9], s[4:5], 0, v[2:3]
	v_mov_b32_e32 v1, v3
	v_lshl_add_u64 v[2:3], v[12:13], 0, -1
	v_add3_u32 v5, v5, v14, v11
	v_mul_lo_u32 v11, s17, v12
	v_mul_lo_u32 v14, s16, v13
	v_mad_u64_u32 v[12:13], s[0:1], s16, v12, 0
	s_mul_i32 s2, s12, s19
	s_mul_hi_u32 s3, s12, s18
	v_add3_u32 v13, v13, v14, v11
	s_add_i32 s2, s3, s2
	s_mul_i32 s3, s13, s18
	v_lshlrev_b64 v[12:13], 1, v[12:13]
	s_add_i32 s3, s2, s3
	s_mul_i32 s2, s12, s18
	v_lshl_add_u64 v[4:5], v[4:5], 1, v[12:13]
	s_lshl_b64 s[0:1], s[16:17], 1
	s_lshl_b64 s[2:3], s[2:3], 1
	v_lshl_add_u64 v[0:1], v[4:5], 0, v[0:1]
	s_sub_u32 s0, s0, s2
	v_lshl_add_u64 v[0:1], s[6:7], 0, v[0:1]
	s_subb_u32 s1, s1, s3
	s_mov_b64 s[2:3], 0
.LBB9_110:                              ; =>This Inner Loop Header: Depth=1
	global_load_ushort v4, v[0:1], off
	v_lshl_add_u64 v[2:3], v[2:3], 0, 1
	v_cmp_ge_i64_e32 vcc, v[2:3], v[6:7]
	v_lshl_add_u64 v[0:1], v[0:1], 0, s[0:1]
	s_or_b64 s[2:3], vcc, s[2:3]
	s_waitcnt vmcnt(0)
	v_add_f16_e32 v10, v10, v4
	global_store_short v[8:9], v10, off
	s_andn2_b64 exec, exec, s[2:3]
	s_cbranch_execnz .LBB9_110
.LBB9_111:
	s_endpgm
	.section	.rodata,"a",@progbits
	.p2align	6, 0x0
	.amdhsa_kernel _ZN2at6native12_GLOBAL__N_135_unfold_backward_elementwise_kernelILi256ELi4EZNS1_32_unfold_backward_internal_kernelIN3c104HalfEEEvRNS_14TensorIteratorEllllllEUliE_EEviT1_
		.amdhsa_group_segment_fixed_size 0
		.amdhsa_private_segment_fixed_size 0
		.amdhsa_kernarg_size 464
		.amdhsa_user_sgpr_count 2
		.amdhsa_user_sgpr_dispatch_ptr 0
		.amdhsa_user_sgpr_queue_ptr 0
		.amdhsa_user_sgpr_kernarg_segment_ptr 1
		.amdhsa_user_sgpr_dispatch_id 0
		.amdhsa_user_sgpr_kernarg_preload_length 0
		.amdhsa_user_sgpr_kernarg_preload_offset 0
		.amdhsa_user_sgpr_private_segment_size 0
		.amdhsa_uses_dynamic_stack 0
		.amdhsa_enable_private_segment 0
		.amdhsa_system_sgpr_workgroup_id_x 1
		.amdhsa_system_sgpr_workgroup_id_y 0
		.amdhsa_system_sgpr_workgroup_id_z 0
		.amdhsa_system_sgpr_workgroup_info 0
		.amdhsa_system_vgpr_workitem_id 0
		.amdhsa_next_free_vgpr 20
		.amdhsa_next_free_sgpr 73
		.amdhsa_accum_offset 20
		.amdhsa_reserve_vcc 1
		.amdhsa_float_round_mode_32 0
		.amdhsa_float_round_mode_16_64 0
		.amdhsa_float_denorm_mode_32 3
		.amdhsa_float_denorm_mode_16_64 3
		.amdhsa_dx10_clamp 1
		.amdhsa_ieee_mode 1
		.amdhsa_fp16_overflow 0
		.amdhsa_tg_split 0
		.amdhsa_exception_fp_ieee_invalid_op 0
		.amdhsa_exception_fp_denorm_src 0
		.amdhsa_exception_fp_ieee_div_zero 0
		.amdhsa_exception_fp_ieee_overflow 0
		.amdhsa_exception_fp_ieee_underflow 0
		.amdhsa_exception_fp_ieee_inexact 0
		.amdhsa_exception_int_div_zero 0
	.end_amdhsa_kernel
	.section	.text._ZN2at6native12_GLOBAL__N_135_unfold_backward_elementwise_kernelILi256ELi4EZNS1_32_unfold_backward_internal_kernelIN3c104HalfEEEvRNS_14TensorIteratorEllllllEUliE_EEviT1_,"axG",@progbits,_ZN2at6native12_GLOBAL__N_135_unfold_backward_elementwise_kernelILi256ELi4EZNS1_32_unfold_backward_internal_kernelIN3c104HalfEEEvRNS_14TensorIteratorEllllllEUliE_EEviT1_,comdat
.Lfunc_end9:
	.size	_ZN2at6native12_GLOBAL__N_135_unfold_backward_elementwise_kernelILi256ELi4EZNS1_32_unfold_backward_internal_kernelIN3c104HalfEEEvRNS_14TensorIteratorEllllllEUliE_EEviT1_, .Lfunc_end9-_ZN2at6native12_GLOBAL__N_135_unfold_backward_elementwise_kernelILi256ELi4EZNS1_32_unfold_backward_internal_kernelIN3c104HalfEEEvRNS_14TensorIteratorEllllllEUliE_EEviT1_
                                        ; -- End function
	.set _ZN2at6native12_GLOBAL__N_135_unfold_backward_elementwise_kernelILi256ELi4EZNS1_32_unfold_backward_internal_kernelIN3c104HalfEEEvRNS_14TensorIteratorEllllllEUliE_EEviT1_.num_vgpr, 20
	.set _ZN2at6native12_GLOBAL__N_135_unfold_backward_elementwise_kernelILi256ELi4EZNS1_32_unfold_backward_internal_kernelIN3c104HalfEEEvRNS_14TensorIteratorEllllllEUliE_EEviT1_.num_agpr, 0
	.set _ZN2at6native12_GLOBAL__N_135_unfold_backward_elementwise_kernelILi256ELi4EZNS1_32_unfold_backward_internal_kernelIN3c104HalfEEEvRNS_14TensorIteratorEllllllEUliE_EEviT1_.numbered_sgpr, 73
	.set _ZN2at6native12_GLOBAL__N_135_unfold_backward_elementwise_kernelILi256ELi4EZNS1_32_unfold_backward_internal_kernelIN3c104HalfEEEvRNS_14TensorIteratorEllllllEUliE_EEviT1_.num_named_barrier, 0
	.set _ZN2at6native12_GLOBAL__N_135_unfold_backward_elementwise_kernelILi256ELi4EZNS1_32_unfold_backward_internal_kernelIN3c104HalfEEEvRNS_14TensorIteratorEllllllEUliE_EEviT1_.private_seg_size, 0
	.set _ZN2at6native12_GLOBAL__N_135_unfold_backward_elementwise_kernelILi256ELi4EZNS1_32_unfold_backward_internal_kernelIN3c104HalfEEEvRNS_14TensorIteratorEllllllEUliE_EEviT1_.uses_vcc, 1
	.set _ZN2at6native12_GLOBAL__N_135_unfold_backward_elementwise_kernelILi256ELi4EZNS1_32_unfold_backward_internal_kernelIN3c104HalfEEEvRNS_14TensorIteratorEllllllEUliE_EEviT1_.uses_flat_scratch, 0
	.set _ZN2at6native12_GLOBAL__N_135_unfold_backward_elementwise_kernelILi256ELi4EZNS1_32_unfold_backward_internal_kernelIN3c104HalfEEEvRNS_14TensorIteratorEllllllEUliE_EEviT1_.has_dyn_sized_stack, 0
	.set _ZN2at6native12_GLOBAL__N_135_unfold_backward_elementwise_kernelILi256ELi4EZNS1_32_unfold_backward_internal_kernelIN3c104HalfEEEvRNS_14TensorIteratorEllllllEUliE_EEviT1_.has_recursion, 0
	.set _ZN2at6native12_GLOBAL__N_135_unfold_backward_elementwise_kernelILi256ELi4EZNS1_32_unfold_backward_internal_kernelIN3c104HalfEEEvRNS_14TensorIteratorEllllllEUliE_EEviT1_.has_indirect_call, 0
	.section	.AMDGPU.csdata,"",@progbits
; Kernel info:
; codeLenInByte = 11028
; TotalNumSgprs: 79
; NumVgprs: 20
; NumAgprs: 0
; TotalNumVgprs: 20
; ScratchSize: 0
; MemoryBound: 0
; FloatMode: 240
; IeeeMode: 1
; LDSByteSize: 0 bytes/workgroup (compile time only)
; SGPRBlocks: 9
; VGPRBlocks: 2
; NumSGPRsForWavesPerEU: 79
; NumVGPRsForWavesPerEU: 20
; AccumOffset: 20
; Occupancy: 8
; WaveLimiterHint : 1
; COMPUTE_PGM_RSRC2:SCRATCH_EN: 0
; COMPUTE_PGM_RSRC2:USER_SGPR: 2
; COMPUTE_PGM_RSRC2:TRAP_HANDLER: 0
; COMPUTE_PGM_RSRC2:TGID_X_EN: 1
; COMPUTE_PGM_RSRC2:TGID_Y_EN: 0
; COMPUTE_PGM_RSRC2:TGID_Z_EN: 0
; COMPUTE_PGM_RSRC2:TIDIG_COMP_CNT: 0
; COMPUTE_PGM_RSRC3_GFX90A:ACCUM_OFFSET: 4
; COMPUTE_PGM_RSRC3_GFX90A:TG_SPLIT: 0
	.section	.text._ZN2at6native12_GLOBAL__N_135_unfold_backward_elementwise_kernelILi256ELi4EZNS1_32_unfold_backward_internal_kernelIbEEvRNS_14TensorIteratorEllllllEUliE_EEviT1_,"axG",@progbits,_ZN2at6native12_GLOBAL__N_135_unfold_backward_elementwise_kernelILi256ELi4EZNS1_32_unfold_backward_internal_kernelIbEEvRNS_14TensorIteratorEllllllEUliE_EEviT1_,comdat
	.globl	_ZN2at6native12_GLOBAL__N_135_unfold_backward_elementwise_kernelILi256ELi4EZNS1_32_unfold_backward_internal_kernelIbEEvRNS_14TensorIteratorEllllllEUliE_EEviT1_ ; -- Begin function _ZN2at6native12_GLOBAL__N_135_unfold_backward_elementwise_kernelILi256ELi4EZNS1_32_unfold_backward_internal_kernelIbEEvRNS_14TensorIteratorEllllllEUliE_EEviT1_
	.p2align	8
	.type	_ZN2at6native12_GLOBAL__N_135_unfold_backward_elementwise_kernelILi256ELi4EZNS1_32_unfold_backward_internal_kernelIbEEvRNS_14TensorIteratorEllllllEUliE_EEviT1_,@function
_ZN2at6native12_GLOBAL__N_135_unfold_backward_elementwise_kernelILi256ELi4EZNS1_32_unfold_backward_internal_kernelIbEEvRNS_14TensorIteratorEllllllEUliE_EEviT1_: ; @_ZN2at6native12_GLOBAL__N_135_unfold_backward_elementwise_kernelILi256ELi4EZNS1_32_unfold_backward_internal_kernelIbEEvRNS_14TensorIteratorEllllllEUliE_EEviT1_
; %bb.0:
	s_load_dword s70, s[0:1], 0x0
	s_load_dwordx8 s[20:27], s[0:1], 0x8
	v_lshl_or_b32 v14, s2, 10, v0
	s_waitcnt lgkmcnt(0)
	s_add_u32 s27, s0, 8
	s_load_dwordx16 s[4:19], s[0:1], 0x190
	s_load_dwordx4 s[28:31], s[0:1], 0xcc
	s_load_dwordx2 s[34:35], s[0:1], 0xdc
	s_addc_u32 s33, s1, 0
	v_sub_co_u32_e64 v0, s[2:3], s20, 1
	s_nop 0
	v_readfirstlane_b32 s68, v0
	s_xor_b64 s[64:65], s[2:3], -1
	s_or_b32 s62, s0, 12
	s_min_u32 s69, s68, 15
	s_mov_b32 s63, s1
	s_cmp_gt_u32 s20, 1
	v_cmp_lt_u32_e64 s[0:1], 1, v0
	s_cselect_b64 s[60:61], -1, 0
	s_waitcnt lgkmcnt(0)
	s_add_u32 s14, s14, -1
	v_cndmask_b32_e64 v0, 0, 1, s[0:1]
	s_mov_b64 s[2:3], -1
	s_addc_u32 s15, s15, -1
	v_cmp_gt_i32_e32 vcc, s70, v14
	v_cmp_ne_u32_e64 s[0:1], 1, v0
	s_and_saveexec_b64 s[66:67], vcc
	s_cbranch_execnz .LBB10_4
; %bb.1:
	s_or_b64 exec, exec, s[66:67]
	v_cmp_gt_i32_e32 vcc, s70, v14
	s_and_saveexec_b64 s[66:67], vcc
	s_cbranch_execnz .LBB10_31
.LBB10_2:
	s_or_b64 exec, exec, s[66:67]
	v_cmp_gt_i32_e32 vcc, s70, v14
	s_and_saveexec_b64 s[66:67], vcc
	s_cbranch_execnz .LBB10_58
.LBB10_3:
	s_or_b64 exec, exec, s[66:67]
	v_cmp_gt_i32_e32 vcc, s70, v14
	s_and_saveexec_b64 s[2:3], vcc
	s_cbranch_execnz .LBB10_85
	s_branch .LBB10_111
.LBB10_4:
	s_and_b64 vcc, exec, s[0:1]
                                        ; implicit-def: $vgpr4
                                        ; implicit-def: $vgpr0
                                        ; implicit-def: $vgpr2
	s_cbranch_vccnz .LBB10_14
; %bb.5:
	v_mov_b32_e32 v4, 0
	s_andn2_b64 vcc, exec, s[64:65]
	v_mov_b32_e32 v0, 0
	v_mov_b32_e32 v2, 0
	s_cbranch_vccnz .LBB10_13
; %bb.6:
	s_add_i32 s71, s69, 1
	s_cmp_eq_u32 s68, 2
	s_cbranch_scc1 .LBB10_10
; %bb.7:
	s_and_b32 s20, s71, 28
	v_mov_b32_e32 v2, 0
	s_mov_b32 s72, 0
	s_mov_b64 s[2:3], s[62:63]
	v_mov_b32_e32 v6, v14
	v_mov_b32_e32 v0, 0
	;; [unrolled: 1-line block ×3, first 2 shown]
.LBB10_8:                               ; =>This Inner Loop Header: Depth=1
	s_load_dwordx8 s[36:43], s[2:3], 0x0
	s_load_dwordx4 s[52:55], s[2:3], 0x20
	s_load_dwordx4 s[56:59], s[2:3], 0xe0
	s_load_dwordx8 s[44:51], s[2:3], 0xc0
	s_add_i32 s72, s72, 4
	s_waitcnt lgkmcnt(0)
	v_mul_hi_u32 v1, s37, v6
	v_add_u32_e32 v1, v6, v1
	v_lshrrev_b32_e32 v1, s38, v1
	v_mul_hi_u32 v5, s40, v1
	v_add_u32_e32 v5, v1, v5
	v_lshrrev_b32_e32 v5, s41, v5
	v_mul_lo_u32 v3, v1, s36
	v_mul_lo_u32 v8, v5, s39
	v_mul_hi_u32 v9, s43, v5
	v_sub_u32_e32 v3, v6, v3
	v_sub_u32_e32 v1, v1, v8
	v_add_u32_e32 v8, v5, v9
	v_mul_lo_u32 v6, v3, s44
	v_mul_lo_u32 v7, v3, s46
	v_mul_lo_u32 v3, v3, s45
	v_mul_lo_u32 v9, v1, s47
	v_mul_lo_u32 v10, v1, s49
	v_mul_lo_u32 v1, v1, s48
	v_lshrrev_b32_e32 v8, s52, v8
	v_add3_u32 v0, v3, v0, v1
	v_add3_u32 v1, v7, v4, v10
	v_mul_hi_u32 v4, s54, v8
	v_add_u32_e32 v4, v8, v4
	v_add3_u32 v2, v6, v2, v9
	v_lshrrev_b32_e32 v6, s55, v4
	v_mul_lo_u32 v3, v8, s42
	v_mul_lo_u32 v4, v6, s53
	s_add_u32 s2, s2, 48
	v_sub_u32_e32 v3, v5, v3
	v_sub_u32_e32 v4, v8, v4
	s_addc_u32 s3, s3, 0
	v_mul_lo_u32 v5, v3, s50
	v_mul_lo_u32 v7, v3, s51
	;; [unrolled: 1-line block ×6, first 2 shown]
	s_cmp_lg_u32 s20, s72
	v_add3_u32 v2, v5, v2, v8
	v_add3_u32 v4, v3, v1, v4
	;; [unrolled: 1-line block ×3, first 2 shown]
	s_cbranch_scc1 .LBB10_8
; %bb.9:
	v_mov_b32_e32 v1, v4
	s_and_b32 s36, s71, 3
	s_cmp_eq_u32 s36, 0
	s_cbranch_scc0 .LBB10_11
	s_branch .LBB10_13
.LBB10_10:
	v_mov_b32_e32 v0, 0
	s_mov_b32 s20, 0
	v_mov_b32_e32 v1, v0
                                        ; implicit-def: $vgpr4
	v_mov_b32_e32 v6, v14
	v_mov_b32_e32 v2, v0
	s_and_b32 s36, s71, 3
	s_cmp_eq_u32 s36, 0
	s_cbranch_scc1 .LBB10_13
.LBB10_11:
	s_mul_i32 s2, s20, 12
	s_add_u32 s2, s27, s2
	s_addc_u32 s3, s33, 0
	s_add_u32 s2, s2, 4
	s_addc_u32 s3, s3, 0
.LBB10_12:                              ; =>This Inner Loop Header: Depth=1
	s_load_dwordx2 s[38:39], s[2:3], 0x0
	s_load_dword s20, s[2:3], 0x8
	s_load_dwordx2 s[40:41], s[2:3], 0xc0
	s_load_dword s37, s[2:3], 0xc8
	v_mov_b32_e32 v4, v1
	s_waitcnt lgkmcnt(0)
	v_mul_hi_u32 v1, s39, v6
	v_add_u32_e32 v1, v6, v1
	v_lshrrev_b32_e32 v1, s20, v1
	v_mul_lo_u32 v3, v1, s38
	s_add_u32 s2, s2, 12
	v_sub_u32_e32 v7, v6, v3
	s_addc_u32 s3, s3, 0
	s_add_i32 s36, s36, -1
	v_mov_b32_e32 v6, v1
	v_mad_u64_u32 v[4:5], s[38:39], v7, s37, v[4:5]
	v_mad_u64_u32 v[0:1], s[38:39], v7, s41, v[0:1]
	s_cmp_lg_u32 s36, 0
	v_mad_u64_u32 v[2:3], s[38:39], v7, s40, v[2:3]
	v_mov_b32_e32 v1, v4
	s_cbranch_scc1 .LBB10_12
.LBB10_13:
	s_mov_b64 s[2:3], 0
.LBB10_14:
	s_andn2_b64 vcc, exec, s[2:3]
	s_cbranch_vccnz .LBB10_17
; %bb.15:
	v_mul_hi_u32 v0, s22, v14
	v_add_u32_e32 v0, v14, v0
	v_lshrrev_b32_e32 v1, s23, v0
	v_mul_lo_u32 v0, v1, s21
	v_sub_u32_e32 v0, v14, v0
	v_mul_lo_u32 v2, v0, s28
	v_mul_lo_u32 v4, v0, s30
	s_andn2_b64 vcc, exec, s[60:61]
	v_mul_lo_u32 v0, v0, s29
	s_cbranch_vccnz .LBB10_17
; %bb.16:
	v_mul_hi_u32 v3, s25, v1
	v_add_u32_e32 v3, v1, v3
	v_lshrrev_b32_e32 v3, s26, v3
	v_mul_lo_u32 v3, v3, s24
	v_sub_u32_e32 v5, v1, v3
	v_mad_u64_u32 v[2:3], s[2:3], v5, s31, v[2:3]
	v_mad_u64_u32 v[0:1], s[2:3], v5, s34, v[0:1]
	;; [unrolled: 1-line block ×3, first 2 shown]
.LBB10_17:
	global_load_dwordx2 v[4:5], v4, s[8:9]
	v_mov_b64_e32 v[6:7], 0
	s_waitcnt vmcnt(0)
	v_cmp_lt_i64_e32 vcc, s[10:11], v[4:5]
	s_and_saveexec_b64 s[36:37], vcc
	s_cbranch_execz .LBB10_23
; %bb.18:
	v_mov_b32_e32 v1, s11
	v_subrev_co_u32_e32 v8, vcc, s10, v4
	v_mov_b32_e32 v10, 0
	s_nop 0
	v_subb_co_u32_e32 v9, vcc, v5, v1, vcc
	v_or_b32_e32 v11, s13, v9
	v_cmp_ne_u64_e32 vcc, 0, v[10:11]
                                        ; implicit-def: $vgpr6_vgpr7
	s_and_saveexec_b64 s[2:3], vcc
	s_xor_b64 s[38:39], exec, s[2:3]
	s_cbranch_execz .LBB10_20
; %bb.19:
	s_ashr_i32 s40, s13, 31
	s_add_u32 s2, s12, s40
	s_mov_b32 s41, s40
	s_addc_u32 s3, s13, s40
	s_xor_b64 s[42:43], s[2:3], s[40:41]
	v_cvt_f32_u32_e32 v1, s42
	v_cvt_f32_u32_e32 v3, s43
	s_sub_u32 s20, 0, s42
	s_subb_u32 s41, 0, s43
	v_ashrrev_i32_e32 v6, 31, v9
	v_fmamk_f32 v1, v3, 0x4f800000, v1
	v_rcp_f32_e32 v1, v1
	v_mov_b32_e32 v7, v6
	v_lshl_add_u64 v[8:9], v[8:9], 0, v[6:7]
	v_mov_b32_e32 v13, v10
	v_mul_f32_e32 v1, 0x5f7ffffc, v1
	v_mul_f32_e32 v3, 0x2f800000, v1
	v_trunc_f32_e32 v3, v3
	v_fmamk_f32 v1, v3, 0xcf800000, v1
	v_cvt_u32_f32_e32 v3, v3
	v_cvt_u32_f32_e32 v1, v1
	v_readfirstlane_b32 s44, v3
	v_readfirstlane_b32 s2, v1
	s_mul_i32 s3, s20, s44
	s_mul_hi_u32 s46, s20, s2
	s_mul_i32 s45, s41, s2
	s_add_i32 s3, s46, s3
	s_add_i32 s3, s3, s45
	s_mul_i32 s47, s20, s2
	s_mul_i32 s46, s2, s3
	s_mul_hi_u32 s48, s2, s47
	s_mul_hi_u32 s45, s2, s3
	s_add_u32 s46, s48, s46
	s_addc_u32 s45, 0, s45
	s_mul_hi_u32 s49, s44, s47
	s_mul_i32 s47, s44, s47
	s_add_u32 s46, s46, s47
	s_mul_hi_u32 s48, s44, s3
	s_addc_u32 s45, s45, s49
	s_addc_u32 s46, s48, 0
	s_mul_i32 s3, s44, s3
	s_add_u32 s3, s45, s3
	s_addc_u32 s45, 0, s46
	s_add_u32 s46, s2, s3
	s_cselect_b64 s[2:3], -1, 0
	s_cmp_lg_u64 s[2:3], 0
	s_addc_u32 s44, s44, s45
	s_mul_i32 s2, s20, s44
	s_mul_hi_u32 s3, s20, s46
	s_add_i32 s2, s3, s2
	s_mul_i32 s41, s41, s46
	s_add_i32 s2, s2, s41
	s_mul_i32 s20, s20, s46
	s_mul_hi_u32 s41, s44, s20
	s_mul_i32 s45, s44, s20
	s_mul_i32 s48, s46, s2
	s_mul_hi_u32 s20, s46, s20
	s_mul_hi_u32 s47, s46, s2
	s_add_u32 s20, s20, s48
	s_addc_u32 s47, 0, s47
	s_add_u32 s20, s20, s45
	s_mul_hi_u32 s3, s44, s2
	s_addc_u32 s20, s47, s41
	s_addc_u32 s3, s3, 0
	s_mul_i32 s2, s44, s2
	s_add_u32 s2, s20, s2
	s_addc_u32 s20, 0, s3
	s_add_u32 s41, s46, s2
	s_cselect_b64 s[2:3], -1, 0
	s_cmp_lg_u64 s[2:3], 0
	s_addc_u32 s20, s44, s20
	v_xor_b32_e32 v3, v8, v6
	v_xor_b32_e32 v1, v9, v6
	v_mad_u64_u32 v[8:9], s[2:3], v3, s20, 0
	v_mul_hi_u32 v12, v3, s41
	v_lshl_add_u64 v[8:9], v[12:13], 0, v[8:9]
	v_mad_u64_u32 v[16:17], s[2:3], v1, s41, 0
	v_add_co_u32_e32 v7, vcc, v8, v16
	v_mad_u64_u32 v[12:13], s[2:3], v1, s20, 0
	s_nop 0
	v_addc_co_u32_e32 v8, vcc, v9, v17, vcc
	v_mov_b32_e32 v9, v10
	s_nop 0
	v_addc_co_u32_e32 v13, vcc, 0, v13, vcc
	v_lshl_add_u64 v[8:9], v[8:9], 0, v[12:13]
	v_mul_lo_u32 v7, s43, v8
	v_mul_lo_u32 v12, s42, v9
	v_mad_u64_u32 v[10:11], s[2:3], s42, v8, 0
	v_add3_u32 v7, v11, v12, v7
	v_sub_u32_e32 v11, v1, v7
	v_mov_b32_e32 v12, s43
	v_sub_co_u32_e32 v3, vcc, v3, v10
	s_nop 1
	v_subb_co_u32_e64 v10, s[2:3], v11, v12, vcc
	v_subrev_co_u32_e64 v11, s[2:3], s42, v3
	v_subb_co_u32_e32 v1, vcc, v1, v7, vcc
	s_nop 0
	v_subbrev_co_u32_e64 v10, s[2:3], 0, v10, s[2:3]
	v_cmp_le_u32_e64 s[2:3], s43, v10
	v_cmp_le_u32_e32 vcc, s43, v1
	s_nop 0
	v_cndmask_b32_e64 v12, 0, -1, s[2:3]
	v_cmp_le_u32_e64 s[2:3], s42, v11
	v_cndmask_b32_e64 v7, 0, -1, vcc
	v_cmp_le_u32_e32 vcc, s42, v3
	v_cndmask_b32_e64 v11, 0, -1, s[2:3]
	v_cmp_eq_u32_e64 s[2:3], s43, v10
	v_cndmask_b32_e64 v3, 0, -1, vcc
	v_cmp_eq_u32_e32 vcc, s43, v1
	v_cndmask_b32_e64 v15, v12, v11, s[2:3]
	v_lshl_add_u64 v[10:11], v[8:9], 0, 2
	v_lshl_add_u64 v[12:13], v[8:9], 0, 1
	v_cmp_ne_u32_e64 s[2:3], 0, v15
	v_cndmask_b32_e32 v1, v7, v3, vcc
	v_cmp_ne_u32_e32 vcc, 0, v1
	v_cndmask_b32_e64 v3, v12, v10, s[2:3]
	v_cndmask_b32_e64 v11, v13, v11, s[2:3]
	v_cndmask_b32_e32 v3, v8, v3, vcc
	v_xor_b32_e32 v7, s40, v6
	v_cndmask_b32_e32 v1, v9, v11, vcc
	v_xor_b32_e32 v3, v3, v7
	v_xor_b32_e32 v1, v1, v7
	v_sub_co_u32_e32 v6, vcc, v3, v7
                                        ; implicit-def: $vgpr8
	s_nop 1
	v_subb_co_u32_e32 v7, vcc, v1, v7, vcc
.LBB10_20:
	s_andn2_saveexec_b64 s[2:3], s[38:39]
	s_cbranch_execz .LBB10_22
; %bb.21:
	v_cvt_f32_u32_e32 v1, s12
	s_sub_i32 s20, 0, s12
	v_rcp_iflag_f32_e32 v1, v1
	s_nop 0
	v_mul_f32_e32 v1, 0x4f7ffffe, v1
	v_cvt_u32_f32_e32 v1, v1
	v_mul_lo_u32 v3, s20, v1
	v_mul_hi_u32 v3, v1, v3
	v_add_u32_e32 v1, v1, v3
	v_mul_hi_u32 v1, v8, v1
	v_mul_lo_u32 v3, v1, s12
	v_sub_u32_e32 v3, v8, v3
	v_add_u32_e32 v6, 1, v1
	v_subrev_u32_e32 v7, s12, v3
	v_cmp_le_u32_e32 vcc, s12, v3
	s_nop 1
	v_cndmask_b32_e32 v3, v3, v7, vcc
	v_cndmask_b32_e32 v1, v1, v6, vcc
	v_add_u32_e32 v6, 1, v1
	v_cmp_le_u32_e32 vcc, s12, v3
	v_mov_b32_e32 v7, 0
	s_nop 0
	v_cndmask_b32_e32 v6, v1, v6, vcc
.LBB10_22:
	s_or_b64 exec, exec, s[2:3]
.LBB10_23:
	s_or_b64 exec, exec, s[36:37]
	v_or_b32_e32 v9, s13, v5
	v_mov_b32_e32 v8, 0
	v_cmp_ne_u64_e32 vcc, 0, v[8:9]
                                        ; implicit-def: $vgpr10_vgpr11
	s_and_saveexec_b64 s[2:3], vcc
	s_xor_b64 s[36:37], exec, s[2:3]
	s_cbranch_execz .LBB10_25
; %bb.24:
	s_ashr_i32 s38, s13, 31
	s_add_u32 s2, s12, s38
	s_mov_b32 s39, s38
	s_addc_u32 s3, s13, s38
	s_xor_b64 s[40:41], s[2:3], s[38:39]
	v_cvt_f32_u32_e32 v1, s40
	v_cvt_f32_u32_e32 v3, s41
	s_sub_u32 s20, 0, s40
	s_subb_u32 s39, 0, s41
	v_ashrrev_i32_e32 v10, 31, v5
	v_fmamk_f32 v1, v3, 0x4f800000, v1
	v_rcp_f32_e32 v1, v1
	v_mov_b32_e32 v11, v10
	v_lshl_add_u64 v[12:13], v[4:5], 0, v[10:11]
	v_mov_b32_e32 v17, v8
	v_mul_f32_e32 v1, 0x5f7ffffc, v1
	v_mul_f32_e32 v3, 0x2f800000, v1
	v_trunc_f32_e32 v3, v3
	v_fmamk_f32 v1, v3, 0xcf800000, v1
	v_cvt_u32_f32_e32 v3, v3
	v_cvt_u32_f32_e32 v1, v1
	v_readfirstlane_b32 s42, v3
	v_readfirstlane_b32 s2, v1
	s_mul_i32 s3, s20, s42
	s_mul_hi_u32 s44, s20, s2
	s_mul_i32 s43, s39, s2
	s_add_i32 s3, s44, s3
	s_add_i32 s3, s3, s43
	s_mul_i32 s45, s20, s2
	s_mul_i32 s44, s2, s3
	s_mul_hi_u32 s46, s2, s45
	s_mul_hi_u32 s43, s2, s3
	s_add_u32 s44, s46, s44
	s_addc_u32 s43, 0, s43
	s_mul_hi_u32 s47, s42, s45
	s_mul_i32 s45, s42, s45
	s_add_u32 s44, s44, s45
	s_mul_hi_u32 s46, s42, s3
	s_addc_u32 s43, s43, s47
	s_addc_u32 s44, s46, 0
	s_mul_i32 s3, s42, s3
	s_add_u32 s3, s43, s3
	s_addc_u32 s43, 0, s44
	s_add_u32 s44, s2, s3
	s_cselect_b64 s[2:3], -1, 0
	s_cmp_lg_u64 s[2:3], 0
	s_addc_u32 s42, s42, s43
	s_mul_i32 s2, s20, s42
	s_mul_hi_u32 s3, s20, s44
	s_add_i32 s2, s3, s2
	s_mul_i32 s39, s39, s44
	s_add_i32 s2, s2, s39
	s_mul_i32 s20, s20, s44
	s_mul_hi_u32 s39, s42, s20
	s_mul_i32 s43, s42, s20
	s_mul_i32 s46, s44, s2
	s_mul_hi_u32 s20, s44, s20
	s_mul_hi_u32 s45, s44, s2
	s_add_u32 s20, s20, s46
	s_addc_u32 s45, 0, s45
	s_add_u32 s20, s20, s43
	s_mul_hi_u32 s3, s42, s2
	s_addc_u32 s20, s45, s39
	s_addc_u32 s3, s3, 0
	s_mul_i32 s2, s42, s2
	s_add_u32 s2, s20, s2
	s_addc_u32 s20, 0, s3
	s_add_u32 s39, s44, s2
	s_cselect_b64 s[2:3], -1, 0
	s_cmp_lg_u64 s[2:3], 0
	s_addc_u32 s20, s42, s20
	v_xor_b32_e32 v3, v12, v10
	v_xor_b32_e32 v1, v13, v10
	v_mad_u64_u32 v[12:13], s[2:3], v3, s20, 0
	v_mul_hi_u32 v16, v3, s39
	v_lshl_add_u64 v[12:13], v[16:17], 0, v[12:13]
	v_mad_u64_u32 v[18:19], s[2:3], v1, s39, 0
	v_add_co_u32_e32 v9, vcc, v12, v18
	v_mad_u64_u32 v[16:17], s[2:3], v1, s20, 0
	s_nop 0
	v_addc_co_u32_e32 v12, vcc, v13, v19, vcc
	v_mov_b32_e32 v13, v8
	s_nop 0
	v_addc_co_u32_e32 v17, vcc, 0, v17, vcc
	v_lshl_add_u64 v[8:9], v[12:13], 0, v[16:17]
	v_mul_lo_u32 v11, s41, v8
	v_mul_lo_u32 v15, s40, v9
	v_mad_u64_u32 v[12:13], s[2:3], s40, v8, 0
	v_add3_u32 v11, v13, v15, v11
	v_sub_u32_e32 v13, v1, v11
	v_mov_b32_e32 v15, s41
	v_sub_co_u32_e32 v3, vcc, v3, v12
	v_lshl_add_u64 v[16:17], v[8:9], 0, 1
	s_nop 0
	v_subb_co_u32_e64 v12, s[2:3], v13, v15, vcc
	v_subrev_co_u32_e64 v13, s[2:3], s40, v3
	v_subb_co_u32_e32 v1, vcc, v1, v11, vcc
	s_nop 0
	v_subbrev_co_u32_e64 v12, s[2:3], 0, v12, s[2:3]
	v_cmp_le_u32_e64 s[2:3], s41, v12
	v_cmp_le_u32_e32 vcc, s41, v1
	s_nop 0
	v_cndmask_b32_e64 v15, 0, -1, s[2:3]
	v_cmp_le_u32_e64 s[2:3], s40, v13
	v_cndmask_b32_e64 v11, 0, -1, vcc
	v_cmp_le_u32_e32 vcc, s40, v3
	v_cndmask_b32_e64 v13, 0, -1, s[2:3]
	v_cmp_eq_u32_e64 s[2:3], s41, v12
	v_cndmask_b32_e64 v3, 0, -1, vcc
	v_cmp_eq_u32_e32 vcc, s41, v1
	v_cndmask_b32_e64 v15, v15, v13, s[2:3]
	v_lshl_add_u64 v[12:13], v[8:9], 0, 2
	v_cmp_ne_u32_e64 s[2:3], 0, v15
	v_cndmask_b32_e32 v1, v11, v3, vcc
	v_cmp_ne_u32_e32 vcc, 0, v1
	v_cndmask_b32_e64 v3, v16, v12, s[2:3]
	v_cndmask_b32_e64 v13, v17, v13, s[2:3]
	v_cndmask_b32_e32 v3, v8, v3, vcc
	v_xor_b32_e32 v8, s38, v10
	v_cndmask_b32_e32 v1, v9, v13, vcc
	v_xor_b32_e32 v3, v3, v8
	v_xor_b32_e32 v1, v1, v8
	v_sub_co_u32_e32 v10, vcc, v3, v8
	s_nop 1
	v_subb_co_u32_e32 v11, vcc, v1, v8, vcc
.LBB10_25:
	s_andn2_saveexec_b64 s[2:3], s[36:37]
	s_cbranch_execz .LBB10_27
; %bb.26:
	v_cvt_f32_u32_e32 v1, s12
	s_sub_i32 s20, 0, s12
	v_mov_b32_e32 v11, 0
	v_rcp_iflag_f32_e32 v1, v1
	s_nop 0
	v_mul_f32_e32 v1, 0x4f7ffffe, v1
	v_cvt_u32_f32_e32 v1, v1
	v_mul_lo_u32 v3, s20, v1
	v_mul_hi_u32 v3, v1, v3
	v_add_u32_e32 v1, v1, v3
	v_mul_hi_u32 v1, v4, v1
	v_mul_lo_u32 v3, v1, s12
	v_sub_u32_e32 v3, v4, v3
	v_add_u32_e32 v8, 1, v1
	v_subrev_u32_e32 v9, s12, v3
	v_cmp_le_u32_e32 vcc, s12, v3
	s_nop 1
	v_cndmask_b32_e32 v3, v3, v9, vcc
	v_cndmask_b32_e32 v1, v1, v8, vcc
	v_add_u32_e32 v8, 1, v1
	v_cmp_le_u32_e32 vcc, s12, v3
	s_nop 1
	v_cndmask_b32_e32 v10, v1, v8, vcc
.LBB10_27:
	s_or_b64 exec, exec, s[2:3]
	v_mul_lo_u32 v1, v7, s12
	v_mul_lo_u32 v3, v6, s13
	v_mad_u64_u32 v[8:9], s[2:3], v6, s12, 0
	v_add3_u32 v9, v9, v3, v1
	v_cmp_gt_i64_e32 vcc, v[8:9], v[4:5]
	v_mov_b64_e32 v[8:9], s[10:11]
	v_mad_u64_u32 v[8:9], s[2:3], v6, s12, v[8:9]
	v_add3_u32 v9, v1, v9, v3
	v_cmp_ge_i64_e64 s[2:3], v[4:5], v[8:9]
	s_or_b64 s[2:3], vcc, s[2:3]
	v_mov_b32_e32 v1, s15
	v_cndmask_b32_e64 v8, 0, 1, s[2:3]
	s_mov_b32 s2, 0
	v_mov_b32_e32 v9, s2
	v_cmp_gt_i64_e32 vcc, s[14:15], v[10:11]
	v_lshl_add_u64 v[12:13], v[6:7], 0, v[8:9]
	s_nop 0
	v_cndmask_b32_e32 v7, v1, v11, vcc
	v_mov_b32_e32 v1, s14
	v_cndmask_b32_e32 v6, v1, v10, vcc
	v_cmp_le_i64_e32 vcc, v[12:13], v[6:7]
	s_and_saveexec_b64 s[2:3], vcc
	s_cbranch_execz .LBB10_30
; %bb.28:
	global_load_ubyte v10, v2, s[4:5]
	v_mul_lo_u32 v11, s13, v12
	v_mul_lo_u32 v15, s12, v13
	v_mad_u64_u32 v[16:17], s[36:37], s12, v12, 0
	v_mov_b32_e32 v3, 0
	v_add3_u32 v11, v17, v15, v11
	v_sub_co_u32_e32 v15, vcc, v4, v16
	v_lshl_add_u64 v[8:9], s[4:5], 0, v[2:3]
	v_mov_b32_e32 v1, v3
	v_lshl_add_u64 v[2:3], v[12:13], 0, -1
	v_subb_co_u32_e32 v11, vcc, v5, v11, vcc
	v_mul_lo_u32 v16, s17, v12
	v_mul_lo_u32 v13, s16, v13
	v_mad_u64_u32 v[4:5], s[36:37], s16, v12, 0
	v_add3_u32 v5, v5, v13, v16
	v_mad_u64_u32 v[4:5], s[36:37], s18, v15, v[4:5]
	s_mul_i32 s20, s12, s19
	s_mul_hi_u32 s36, s12, s18
	v_mul_lo_u32 v11, s18, v11
	v_mul_lo_u32 v12, s19, v15
	s_add_i32 s20, s36, s20
	s_mul_i32 s36, s13, s18
	v_add3_u32 v5, v12, v5, v11
	s_add_i32 s20, s20, s36
	s_mul_i32 s36, s12, s18
	v_lshl_add_u64 v[0:1], v[4:5], 0, v[0:1]
	s_sub_u32 s36, s16, s36
	v_lshl_add_u64 v[0:1], s[6:7], 0, v[0:1]
	s_subb_u32 s37, s17, s20
	s_mov_b64 s[38:39], 0
.LBB10_29:                              ; =>This Inner Loop Header: Depth=1
	global_load_ubyte v4, v[0:1], off
	v_lshl_add_u64 v[2:3], v[2:3], 0, 1
	v_cmp_ge_i64_e32 vcc, v[2:3], v[6:7]
	v_lshl_add_u64 v[0:1], v[0:1], 0, s[36:37]
	s_or_b64 s[38:39], vcc, s[38:39]
	s_waitcnt vmcnt(0)
	v_or_b32_e32 v10, v4, v10
	global_store_byte v[8:9], v10, off
	s_andn2_b64 exec, exec, s[38:39]
	s_cbranch_execnz .LBB10_29
.LBB10_30:
	s_or_b64 exec, exec, s[2:3]
	v_add_u32_e32 v14, 0x100, v14
	s_or_b64 exec, exec, s[66:67]
	v_cmp_gt_i32_e32 vcc, s70, v14
	s_and_saveexec_b64 s[66:67], vcc
	s_cbranch_execz .LBB10_2
.LBB10_31:
	s_and_b64 vcc, exec, s[0:1]
	s_cbranch_vccnz .LBB10_37
; %bb.32:
	v_mov_b32_e32 v4, 0
	s_andn2_b64 vcc, exec, s[64:65]
	v_mov_b32_e32 v0, 0
	v_mov_b32_e32 v2, 0
	s_cbranch_vccnz .LBB10_41
; %bb.33:
	s_add_i32 s71, s69, 1
	s_cmp_eq_u32 s68, 2
	s_cbranch_scc1 .LBB10_38
; %bb.34:
	s_and_b32 s20, s71, 28
	v_mov_b32_e32 v2, 0
	s_mov_b32 s72, 0
	s_mov_b64 s[2:3], s[62:63]
	v_mov_b32_e32 v6, v14
	v_mov_b32_e32 v0, 0
	;; [unrolled: 1-line block ×3, first 2 shown]
.LBB10_35:                              ; =>This Inner Loop Header: Depth=1
	s_load_dwordx8 s[36:43], s[2:3], 0x0
	s_load_dwordx4 s[52:55], s[2:3], 0x20
	s_load_dwordx4 s[56:59], s[2:3], 0xe0
	s_load_dwordx8 s[44:51], s[2:3], 0xc0
	s_add_i32 s72, s72, 4
	s_waitcnt lgkmcnt(0)
	v_mul_hi_u32 v1, s37, v6
	v_add_u32_e32 v1, v6, v1
	v_lshrrev_b32_e32 v1, s38, v1
	v_mul_hi_u32 v5, s40, v1
	v_add_u32_e32 v5, v1, v5
	v_lshrrev_b32_e32 v5, s41, v5
	v_mul_lo_u32 v3, v1, s36
	v_mul_lo_u32 v8, v5, s39
	v_mul_hi_u32 v9, s43, v5
	v_sub_u32_e32 v3, v6, v3
	v_sub_u32_e32 v1, v1, v8
	v_add_u32_e32 v8, v5, v9
	v_mul_lo_u32 v6, v3, s44
	v_mul_lo_u32 v7, v3, s46
	;; [unrolled: 1-line block ×6, first 2 shown]
	v_lshrrev_b32_e32 v8, s52, v8
	v_add3_u32 v0, v3, v0, v1
	v_add3_u32 v1, v7, v4, v10
	v_mul_hi_u32 v4, s54, v8
	v_add_u32_e32 v4, v8, v4
	v_add3_u32 v2, v6, v2, v9
	v_lshrrev_b32_e32 v6, s55, v4
	v_mul_lo_u32 v3, v8, s42
	v_mul_lo_u32 v4, v6, s53
	s_add_u32 s2, s2, 48
	v_sub_u32_e32 v3, v5, v3
	v_sub_u32_e32 v4, v8, v4
	s_addc_u32 s3, s3, 0
	v_mul_lo_u32 v5, v3, s50
	v_mul_lo_u32 v7, v3, s51
	;; [unrolled: 1-line block ×6, first 2 shown]
	s_cmp_eq_u32 s20, s72
	v_add3_u32 v2, v5, v2, v8
	v_add3_u32 v4, v3, v1, v4
	;; [unrolled: 1-line block ×3, first 2 shown]
	s_cbranch_scc0 .LBB10_35
; %bb.36:
	v_mov_b32_e32 v1, v4
	s_and_b32 s36, s71, 3
	s_cmp_eq_u32 s36, 0
	s_cbranch_scc0 .LBB10_39
	s_branch .LBB10_41
.LBB10_37:
                                        ; implicit-def: $vgpr4
                                        ; implicit-def: $vgpr0
                                        ; implicit-def: $vgpr2
	s_branch .LBB10_42
.LBB10_38:
	v_mov_b32_e32 v0, 0
	s_mov_b32 s20, 0
	v_mov_b32_e32 v1, v0
                                        ; implicit-def: $vgpr4
	v_mov_b32_e32 v6, v14
	v_mov_b32_e32 v2, v0
	s_and_b32 s36, s71, 3
	s_cmp_eq_u32 s36, 0
	s_cbranch_scc1 .LBB10_41
.LBB10_39:
	s_mul_i32 s2, s20, 12
	s_add_u32 s2, s27, s2
	s_addc_u32 s3, s33, 0
	s_add_u32 s2, s2, 4
	s_addc_u32 s3, s3, 0
.LBB10_40:                              ; =>This Inner Loop Header: Depth=1
	s_load_dwordx2 s[38:39], s[2:3], 0x0
	s_load_dword s20, s[2:3], 0x8
	s_load_dwordx2 s[40:41], s[2:3], 0xc0
	s_load_dword s37, s[2:3], 0xc8
	v_mov_b32_e32 v4, v1
	s_waitcnt lgkmcnt(0)
	v_mul_hi_u32 v1, s39, v6
	v_add_u32_e32 v1, v6, v1
	v_lshrrev_b32_e32 v1, s20, v1
	v_mul_lo_u32 v3, v1, s38
	s_add_u32 s2, s2, 12
	v_sub_u32_e32 v7, v6, v3
	s_addc_u32 s3, s3, 0
	s_add_i32 s36, s36, -1
	v_mov_b32_e32 v6, v1
	v_mad_u64_u32 v[4:5], s[38:39], v7, s37, v[4:5]
	v_mad_u64_u32 v[0:1], s[38:39], v7, s41, v[0:1]
	s_cmp_lg_u32 s36, 0
	v_mad_u64_u32 v[2:3], s[38:39], v7, s40, v[2:3]
	v_mov_b32_e32 v1, v4
	s_cbranch_scc1 .LBB10_40
.LBB10_41:
	s_cbranch_execnz .LBB10_44
.LBB10_42:
	v_mul_hi_u32 v0, s22, v14
	v_add_u32_e32 v0, v14, v0
	v_lshrrev_b32_e32 v1, s23, v0
	v_mul_lo_u32 v0, v1, s21
	v_sub_u32_e32 v0, v14, v0
	v_mul_lo_u32 v2, v0, s28
	v_mul_lo_u32 v4, v0, s30
	s_andn2_b64 vcc, exec, s[60:61]
	v_mul_lo_u32 v0, v0, s29
	s_cbranch_vccnz .LBB10_44
; %bb.43:
	v_mul_hi_u32 v3, s25, v1
	v_add_u32_e32 v3, v1, v3
	v_lshrrev_b32_e32 v3, s26, v3
	v_mul_lo_u32 v3, v3, s24
	v_sub_u32_e32 v5, v1, v3
	v_mad_u64_u32 v[2:3], s[2:3], v5, s31, v[2:3]
	v_mad_u64_u32 v[0:1], s[2:3], v5, s34, v[0:1]
	;; [unrolled: 1-line block ×3, first 2 shown]
.LBB10_44:
	global_load_dwordx2 v[4:5], v4, s[8:9]
	v_mov_b64_e32 v[6:7], 0
	s_waitcnt vmcnt(0)
	v_cmp_lt_i64_e32 vcc, s[10:11], v[4:5]
	s_and_saveexec_b64 s[36:37], vcc
	s_cbranch_execz .LBB10_50
; %bb.45:
	v_mov_b32_e32 v1, s11
	v_subrev_co_u32_e32 v8, vcc, s10, v4
	v_mov_b32_e32 v10, 0
	s_nop 0
	v_subb_co_u32_e32 v9, vcc, v5, v1, vcc
	v_or_b32_e32 v11, s13, v9
	v_cmp_ne_u64_e32 vcc, 0, v[10:11]
                                        ; implicit-def: $vgpr6_vgpr7
	s_and_saveexec_b64 s[2:3], vcc
	s_xor_b64 s[38:39], exec, s[2:3]
	s_cbranch_execz .LBB10_47
; %bb.46:
	s_ashr_i32 s40, s13, 31
	s_add_u32 s2, s12, s40
	s_mov_b32 s41, s40
	s_addc_u32 s3, s13, s40
	s_xor_b64 s[42:43], s[2:3], s[40:41]
	v_cvt_f32_u32_e32 v1, s42
	v_cvt_f32_u32_e32 v3, s43
	s_sub_u32 s20, 0, s42
	s_subb_u32 s41, 0, s43
	v_ashrrev_i32_e32 v6, 31, v9
	v_fmamk_f32 v1, v3, 0x4f800000, v1
	v_rcp_f32_e32 v1, v1
	v_mov_b32_e32 v7, v6
	v_lshl_add_u64 v[8:9], v[8:9], 0, v[6:7]
	v_mov_b32_e32 v13, v10
	v_mul_f32_e32 v1, 0x5f7ffffc, v1
	v_mul_f32_e32 v3, 0x2f800000, v1
	v_trunc_f32_e32 v3, v3
	v_fmamk_f32 v1, v3, 0xcf800000, v1
	v_cvt_u32_f32_e32 v3, v3
	v_cvt_u32_f32_e32 v1, v1
	v_readfirstlane_b32 s44, v3
	v_readfirstlane_b32 s2, v1
	s_mul_i32 s3, s20, s44
	s_mul_hi_u32 s46, s20, s2
	s_mul_i32 s45, s41, s2
	s_add_i32 s3, s46, s3
	s_add_i32 s3, s3, s45
	s_mul_i32 s47, s20, s2
	s_mul_i32 s46, s2, s3
	s_mul_hi_u32 s48, s2, s47
	s_mul_hi_u32 s45, s2, s3
	s_add_u32 s46, s48, s46
	s_addc_u32 s45, 0, s45
	s_mul_hi_u32 s49, s44, s47
	s_mul_i32 s47, s44, s47
	s_add_u32 s46, s46, s47
	s_mul_hi_u32 s48, s44, s3
	s_addc_u32 s45, s45, s49
	s_addc_u32 s46, s48, 0
	s_mul_i32 s3, s44, s3
	s_add_u32 s3, s45, s3
	s_addc_u32 s45, 0, s46
	s_add_u32 s46, s2, s3
	s_cselect_b64 s[2:3], -1, 0
	s_cmp_lg_u64 s[2:3], 0
	s_addc_u32 s44, s44, s45
	s_mul_i32 s2, s20, s44
	s_mul_hi_u32 s3, s20, s46
	s_add_i32 s2, s3, s2
	s_mul_i32 s41, s41, s46
	s_add_i32 s2, s2, s41
	s_mul_i32 s20, s20, s46
	s_mul_hi_u32 s41, s44, s20
	s_mul_i32 s45, s44, s20
	s_mul_i32 s48, s46, s2
	s_mul_hi_u32 s20, s46, s20
	s_mul_hi_u32 s47, s46, s2
	s_add_u32 s20, s20, s48
	s_addc_u32 s47, 0, s47
	s_add_u32 s20, s20, s45
	s_mul_hi_u32 s3, s44, s2
	s_addc_u32 s20, s47, s41
	s_addc_u32 s3, s3, 0
	s_mul_i32 s2, s44, s2
	s_add_u32 s2, s20, s2
	s_addc_u32 s20, 0, s3
	s_add_u32 s41, s46, s2
	s_cselect_b64 s[2:3], -1, 0
	s_cmp_lg_u64 s[2:3], 0
	s_addc_u32 s20, s44, s20
	v_xor_b32_e32 v3, v8, v6
	v_xor_b32_e32 v1, v9, v6
	v_mad_u64_u32 v[8:9], s[2:3], v3, s20, 0
	v_mul_hi_u32 v12, v3, s41
	v_lshl_add_u64 v[8:9], v[12:13], 0, v[8:9]
	v_mad_u64_u32 v[16:17], s[2:3], v1, s41, 0
	v_add_co_u32_e32 v7, vcc, v8, v16
	v_mad_u64_u32 v[12:13], s[2:3], v1, s20, 0
	s_nop 0
	v_addc_co_u32_e32 v8, vcc, v9, v17, vcc
	v_mov_b32_e32 v9, v10
	s_nop 0
	v_addc_co_u32_e32 v13, vcc, 0, v13, vcc
	v_lshl_add_u64 v[8:9], v[8:9], 0, v[12:13]
	v_mul_lo_u32 v7, s43, v8
	v_mul_lo_u32 v12, s42, v9
	v_mad_u64_u32 v[10:11], s[2:3], s42, v8, 0
	v_add3_u32 v7, v11, v12, v7
	v_sub_u32_e32 v11, v1, v7
	v_mov_b32_e32 v12, s43
	v_sub_co_u32_e32 v3, vcc, v3, v10
	s_nop 1
	v_subb_co_u32_e64 v10, s[2:3], v11, v12, vcc
	v_subrev_co_u32_e64 v11, s[2:3], s42, v3
	v_subb_co_u32_e32 v1, vcc, v1, v7, vcc
	s_nop 0
	v_subbrev_co_u32_e64 v10, s[2:3], 0, v10, s[2:3]
	v_cmp_le_u32_e64 s[2:3], s43, v10
	v_cmp_le_u32_e32 vcc, s43, v1
	s_nop 0
	v_cndmask_b32_e64 v12, 0, -1, s[2:3]
	v_cmp_le_u32_e64 s[2:3], s42, v11
	v_cndmask_b32_e64 v7, 0, -1, vcc
	v_cmp_le_u32_e32 vcc, s42, v3
	v_cndmask_b32_e64 v11, 0, -1, s[2:3]
	v_cmp_eq_u32_e64 s[2:3], s43, v10
	v_cndmask_b32_e64 v3, 0, -1, vcc
	v_cmp_eq_u32_e32 vcc, s43, v1
	v_cndmask_b32_e64 v15, v12, v11, s[2:3]
	v_lshl_add_u64 v[10:11], v[8:9], 0, 2
	v_lshl_add_u64 v[12:13], v[8:9], 0, 1
	v_cmp_ne_u32_e64 s[2:3], 0, v15
	v_cndmask_b32_e32 v1, v7, v3, vcc
	v_cmp_ne_u32_e32 vcc, 0, v1
	v_cndmask_b32_e64 v3, v12, v10, s[2:3]
	v_cndmask_b32_e64 v11, v13, v11, s[2:3]
	v_cndmask_b32_e32 v3, v8, v3, vcc
	v_xor_b32_e32 v7, s40, v6
	v_cndmask_b32_e32 v1, v9, v11, vcc
	v_xor_b32_e32 v3, v3, v7
	v_xor_b32_e32 v1, v1, v7
	v_sub_co_u32_e32 v6, vcc, v3, v7
                                        ; implicit-def: $vgpr8
	s_nop 1
	v_subb_co_u32_e32 v7, vcc, v1, v7, vcc
.LBB10_47:
	s_andn2_saveexec_b64 s[2:3], s[38:39]
	s_cbranch_execz .LBB10_49
; %bb.48:
	v_cvt_f32_u32_e32 v1, s12
	s_sub_i32 s20, 0, s12
	v_rcp_iflag_f32_e32 v1, v1
	s_nop 0
	v_mul_f32_e32 v1, 0x4f7ffffe, v1
	v_cvt_u32_f32_e32 v1, v1
	v_mul_lo_u32 v3, s20, v1
	v_mul_hi_u32 v3, v1, v3
	v_add_u32_e32 v1, v1, v3
	v_mul_hi_u32 v1, v8, v1
	v_mul_lo_u32 v3, v1, s12
	v_sub_u32_e32 v3, v8, v3
	v_add_u32_e32 v6, 1, v1
	v_subrev_u32_e32 v7, s12, v3
	v_cmp_le_u32_e32 vcc, s12, v3
	s_nop 1
	v_cndmask_b32_e32 v3, v3, v7, vcc
	v_cndmask_b32_e32 v1, v1, v6, vcc
	v_add_u32_e32 v6, 1, v1
	v_cmp_le_u32_e32 vcc, s12, v3
	v_mov_b32_e32 v7, 0
	s_nop 0
	v_cndmask_b32_e32 v6, v1, v6, vcc
.LBB10_49:
	s_or_b64 exec, exec, s[2:3]
.LBB10_50:
	s_or_b64 exec, exec, s[36:37]
	v_or_b32_e32 v9, s13, v5
	v_mov_b32_e32 v8, 0
	v_cmp_ne_u64_e32 vcc, 0, v[8:9]
                                        ; implicit-def: $vgpr10_vgpr11
	s_and_saveexec_b64 s[2:3], vcc
	s_xor_b64 s[36:37], exec, s[2:3]
	s_cbranch_execz .LBB10_52
; %bb.51:
	s_ashr_i32 s38, s13, 31
	s_add_u32 s2, s12, s38
	s_mov_b32 s39, s38
	s_addc_u32 s3, s13, s38
	s_xor_b64 s[40:41], s[2:3], s[38:39]
	v_cvt_f32_u32_e32 v1, s40
	v_cvt_f32_u32_e32 v3, s41
	s_sub_u32 s20, 0, s40
	s_subb_u32 s39, 0, s41
	v_ashrrev_i32_e32 v10, 31, v5
	v_fmamk_f32 v1, v3, 0x4f800000, v1
	v_rcp_f32_e32 v1, v1
	v_mov_b32_e32 v11, v10
	v_lshl_add_u64 v[12:13], v[4:5], 0, v[10:11]
	v_mov_b32_e32 v17, v8
	v_mul_f32_e32 v1, 0x5f7ffffc, v1
	v_mul_f32_e32 v3, 0x2f800000, v1
	v_trunc_f32_e32 v3, v3
	v_fmamk_f32 v1, v3, 0xcf800000, v1
	v_cvt_u32_f32_e32 v3, v3
	v_cvt_u32_f32_e32 v1, v1
	v_readfirstlane_b32 s42, v3
	v_readfirstlane_b32 s2, v1
	s_mul_i32 s3, s20, s42
	s_mul_hi_u32 s44, s20, s2
	s_mul_i32 s43, s39, s2
	s_add_i32 s3, s44, s3
	s_add_i32 s3, s3, s43
	s_mul_i32 s45, s20, s2
	s_mul_i32 s44, s2, s3
	s_mul_hi_u32 s46, s2, s45
	s_mul_hi_u32 s43, s2, s3
	s_add_u32 s44, s46, s44
	s_addc_u32 s43, 0, s43
	s_mul_hi_u32 s47, s42, s45
	s_mul_i32 s45, s42, s45
	s_add_u32 s44, s44, s45
	s_mul_hi_u32 s46, s42, s3
	s_addc_u32 s43, s43, s47
	s_addc_u32 s44, s46, 0
	s_mul_i32 s3, s42, s3
	s_add_u32 s3, s43, s3
	s_addc_u32 s43, 0, s44
	s_add_u32 s44, s2, s3
	s_cselect_b64 s[2:3], -1, 0
	s_cmp_lg_u64 s[2:3], 0
	s_addc_u32 s42, s42, s43
	s_mul_i32 s2, s20, s42
	s_mul_hi_u32 s3, s20, s44
	s_add_i32 s2, s3, s2
	s_mul_i32 s39, s39, s44
	s_add_i32 s2, s2, s39
	s_mul_i32 s20, s20, s44
	s_mul_hi_u32 s39, s42, s20
	s_mul_i32 s43, s42, s20
	s_mul_i32 s46, s44, s2
	s_mul_hi_u32 s20, s44, s20
	s_mul_hi_u32 s45, s44, s2
	s_add_u32 s20, s20, s46
	s_addc_u32 s45, 0, s45
	s_add_u32 s20, s20, s43
	s_mul_hi_u32 s3, s42, s2
	s_addc_u32 s20, s45, s39
	s_addc_u32 s3, s3, 0
	s_mul_i32 s2, s42, s2
	s_add_u32 s2, s20, s2
	s_addc_u32 s20, 0, s3
	s_add_u32 s39, s44, s2
	s_cselect_b64 s[2:3], -1, 0
	s_cmp_lg_u64 s[2:3], 0
	s_addc_u32 s20, s42, s20
	v_xor_b32_e32 v3, v12, v10
	v_xor_b32_e32 v1, v13, v10
	v_mad_u64_u32 v[12:13], s[2:3], v3, s20, 0
	v_mul_hi_u32 v16, v3, s39
	v_lshl_add_u64 v[12:13], v[16:17], 0, v[12:13]
	v_mad_u64_u32 v[18:19], s[2:3], v1, s39, 0
	v_add_co_u32_e32 v9, vcc, v12, v18
	v_mad_u64_u32 v[16:17], s[2:3], v1, s20, 0
	s_nop 0
	v_addc_co_u32_e32 v12, vcc, v13, v19, vcc
	v_mov_b32_e32 v13, v8
	s_nop 0
	v_addc_co_u32_e32 v17, vcc, 0, v17, vcc
	v_lshl_add_u64 v[8:9], v[12:13], 0, v[16:17]
	v_mul_lo_u32 v11, s41, v8
	v_mul_lo_u32 v15, s40, v9
	v_mad_u64_u32 v[12:13], s[2:3], s40, v8, 0
	v_add3_u32 v11, v13, v15, v11
	v_sub_u32_e32 v13, v1, v11
	v_mov_b32_e32 v15, s41
	v_sub_co_u32_e32 v3, vcc, v3, v12
	v_lshl_add_u64 v[16:17], v[8:9], 0, 1
	s_nop 0
	v_subb_co_u32_e64 v12, s[2:3], v13, v15, vcc
	v_subrev_co_u32_e64 v13, s[2:3], s40, v3
	v_subb_co_u32_e32 v1, vcc, v1, v11, vcc
	s_nop 0
	v_subbrev_co_u32_e64 v12, s[2:3], 0, v12, s[2:3]
	v_cmp_le_u32_e64 s[2:3], s41, v12
	v_cmp_le_u32_e32 vcc, s41, v1
	s_nop 0
	v_cndmask_b32_e64 v15, 0, -1, s[2:3]
	v_cmp_le_u32_e64 s[2:3], s40, v13
	v_cndmask_b32_e64 v11, 0, -1, vcc
	v_cmp_le_u32_e32 vcc, s40, v3
	v_cndmask_b32_e64 v13, 0, -1, s[2:3]
	v_cmp_eq_u32_e64 s[2:3], s41, v12
	v_cndmask_b32_e64 v3, 0, -1, vcc
	v_cmp_eq_u32_e32 vcc, s41, v1
	v_cndmask_b32_e64 v15, v15, v13, s[2:3]
	v_lshl_add_u64 v[12:13], v[8:9], 0, 2
	v_cmp_ne_u32_e64 s[2:3], 0, v15
	v_cndmask_b32_e32 v1, v11, v3, vcc
	v_cmp_ne_u32_e32 vcc, 0, v1
	v_cndmask_b32_e64 v3, v16, v12, s[2:3]
	v_cndmask_b32_e64 v13, v17, v13, s[2:3]
	v_cndmask_b32_e32 v3, v8, v3, vcc
	v_xor_b32_e32 v8, s38, v10
	v_cndmask_b32_e32 v1, v9, v13, vcc
	v_xor_b32_e32 v3, v3, v8
	v_xor_b32_e32 v1, v1, v8
	v_sub_co_u32_e32 v10, vcc, v3, v8
	s_nop 1
	v_subb_co_u32_e32 v11, vcc, v1, v8, vcc
.LBB10_52:
	s_andn2_saveexec_b64 s[2:3], s[36:37]
	s_cbranch_execz .LBB10_54
; %bb.53:
	v_cvt_f32_u32_e32 v1, s12
	s_sub_i32 s20, 0, s12
	v_mov_b32_e32 v11, 0
	v_rcp_iflag_f32_e32 v1, v1
	s_nop 0
	v_mul_f32_e32 v1, 0x4f7ffffe, v1
	v_cvt_u32_f32_e32 v1, v1
	v_mul_lo_u32 v3, s20, v1
	v_mul_hi_u32 v3, v1, v3
	v_add_u32_e32 v1, v1, v3
	v_mul_hi_u32 v1, v4, v1
	v_mul_lo_u32 v3, v1, s12
	v_sub_u32_e32 v3, v4, v3
	v_add_u32_e32 v8, 1, v1
	v_subrev_u32_e32 v9, s12, v3
	v_cmp_le_u32_e32 vcc, s12, v3
	s_nop 1
	v_cndmask_b32_e32 v3, v3, v9, vcc
	v_cndmask_b32_e32 v1, v1, v8, vcc
	v_add_u32_e32 v8, 1, v1
	v_cmp_le_u32_e32 vcc, s12, v3
	s_nop 1
	v_cndmask_b32_e32 v10, v1, v8, vcc
.LBB10_54:
	s_or_b64 exec, exec, s[2:3]
	v_mul_lo_u32 v1, v7, s12
	v_mul_lo_u32 v3, v6, s13
	v_mad_u64_u32 v[8:9], s[2:3], v6, s12, 0
	v_add3_u32 v9, v9, v3, v1
	v_cmp_gt_i64_e32 vcc, v[8:9], v[4:5]
	v_mov_b64_e32 v[8:9], s[10:11]
	v_mad_u64_u32 v[8:9], s[2:3], v6, s12, v[8:9]
	v_add3_u32 v9, v1, v9, v3
	v_cmp_ge_i64_e64 s[2:3], v[4:5], v[8:9]
	s_or_b64 s[2:3], vcc, s[2:3]
	v_mov_b32_e32 v1, s15
	v_cndmask_b32_e64 v8, 0, 1, s[2:3]
	s_mov_b32 s2, 0
	v_mov_b32_e32 v9, s2
	v_cmp_gt_i64_e32 vcc, s[14:15], v[10:11]
	v_lshl_add_u64 v[12:13], v[6:7], 0, v[8:9]
	s_nop 0
	v_cndmask_b32_e32 v7, v1, v11, vcc
	v_mov_b32_e32 v1, s14
	v_cndmask_b32_e32 v6, v1, v10, vcc
	v_cmp_le_i64_e32 vcc, v[12:13], v[6:7]
	s_and_saveexec_b64 s[2:3], vcc
	s_cbranch_execz .LBB10_57
; %bb.55:
	global_load_ubyte v10, v2, s[4:5]
	v_mul_lo_u32 v11, s13, v12
	v_mul_lo_u32 v15, s12, v13
	v_mad_u64_u32 v[16:17], s[36:37], s12, v12, 0
	v_mov_b32_e32 v3, 0
	v_add3_u32 v11, v17, v15, v11
	v_sub_co_u32_e32 v15, vcc, v4, v16
	v_lshl_add_u64 v[8:9], s[4:5], 0, v[2:3]
	v_mov_b32_e32 v1, v3
	v_lshl_add_u64 v[2:3], v[12:13], 0, -1
	v_subb_co_u32_e32 v11, vcc, v5, v11, vcc
	v_mul_lo_u32 v16, s17, v12
	v_mul_lo_u32 v13, s16, v13
	v_mad_u64_u32 v[4:5], s[36:37], s16, v12, 0
	v_add3_u32 v5, v5, v13, v16
	v_mad_u64_u32 v[4:5], s[36:37], s18, v15, v[4:5]
	s_mul_i32 s20, s12, s19
	s_mul_hi_u32 s36, s12, s18
	v_mul_lo_u32 v11, s18, v11
	v_mul_lo_u32 v12, s19, v15
	s_add_i32 s20, s36, s20
	s_mul_i32 s36, s13, s18
	v_add3_u32 v5, v12, v5, v11
	s_add_i32 s20, s20, s36
	s_mul_i32 s36, s12, s18
	v_lshl_add_u64 v[0:1], v[4:5], 0, v[0:1]
	s_sub_u32 s36, s16, s36
	v_lshl_add_u64 v[0:1], s[6:7], 0, v[0:1]
	s_subb_u32 s37, s17, s20
	s_mov_b64 s[38:39], 0
.LBB10_56:                              ; =>This Inner Loop Header: Depth=1
	global_load_ubyte v4, v[0:1], off
	v_lshl_add_u64 v[2:3], v[2:3], 0, 1
	v_cmp_ge_i64_e32 vcc, v[2:3], v[6:7]
	v_lshl_add_u64 v[0:1], v[0:1], 0, s[36:37]
	s_or_b64 s[38:39], vcc, s[38:39]
	s_waitcnt vmcnt(0)
	v_or_b32_e32 v10, v4, v10
	global_store_byte v[8:9], v10, off
	s_andn2_b64 exec, exec, s[38:39]
	s_cbranch_execnz .LBB10_56
.LBB10_57:
	s_or_b64 exec, exec, s[2:3]
	v_add_u32_e32 v14, 0x100, v14
	s_or_b64 exec, exec, s[66:67]
	v_cmp_gt_i32_e32 vcc, s70, v14
	s_and_saveexec_b64 s[66:67], vcc
	s_cbranch_execz .LBB10_3
.LBB10_58:
	s_and_b64 vcc, exec, s[0:1]
	s_cbranch_vccnz .LBB10_64
; %bb.59:
	v_mov_b32_e32 v4, 0
	s_andn2_b64 vcc, exec, s[64:65]
	v_mov_b32_e32 v0, 0
	v_mov_b32_e32 v2, 0
	s_cbranch_vccnz .LBB10_68
; %bb.60:
	s_add_i32 s71, s69, 1
	s_cmp_eq_u32 s68, 2
	s_cbranch_scc1 .LBB10_65
; %bb.61:
	s_and_b32 s20, s71, 28
	v_mov_b32_e32 v2, 0
	s_mov_b32 s72, 0
	s_mov_b64 s[2:3], s[62:63]
	v_mov_b32_e32 v6, v14
	v_mov_b32_e32 v0, 0
	;; [unrolled: 1-line block ×3, first 2 shown]
.LBB10_62:                              ; =>This Inner Loop Header: Depth=1
	s_load_dwordx8 s[36:43], s[2:3], 0x0
	s_load_dwordx4 s[52:55], s[2:3], 0x20
	s_load_dwordx4 s[56:59], s[2:3], 0xe0
	s_load_dwordx8 s[44:51], s[2:3], 0xc0
	s_add_i32 s72, s72, 4
	s_waitcnt lgkmcnt(0)
	v_mul_hi_u32 v1, s37, v6
	v_add_u32_e32 v1, v6, v1
	v_lshrrev_b32_e32 v1, s38, v1
	v_mul_hi_u32 v5, s40, v1
	v_add_u32_e32 v5, v1, v5
	v_lshrrev_b32_e32 v5, s41, v5
	v_mul_lo_u32 v3, v1, s36
	v_mul_lo_u32 v8, v5, s39
	v_mul_hi_u32 v9, s43, v5
	v_sub_u32_e32 v3, v6, v3
	v_sub_u32_e32 v1, v1, v8
	v_add_u32_e32 v8, v5, v9
	v_mul_lo_u32 v6, v3, s44
	v_mul_lo_u32 v7, v3, s46
	;; [unrolled: 1-line block ×6, first 2 shown]
	v_lshrrev_b32_e32 v8, s52, v8
	v_add3_u32 v0, v3, v0, v1
	v_add3_u32 v1, v7, v4, v10
	v_mul_hi_u32 v4, s54, v8
	v_add_u32_e32 v4, v8, v4
	v_add3_u32 v2, v6, v2, v9
	v_lshrrev_b32_e32 v6, s55, v4
	v_mul_lo_u32 v3, v8, s42
	v_mul_lo_u32 v4, v6, s53
	s_add_u32 s2, s2, 48
	v_sub_u32_e32 v3, v5, v3
	v_sub_u32_e32 v4, v8, v4
	s_addc_u32 s3, s3, 0
	v_mul_lo_u32 v5, v3, s50
	v_mul_lo_u32 v7, v3, s51
	;; [unrolled: 1-line block ×6, first 2 shown]
	s_cmp_eq_u32 s20, s72
	v_add3_u32 v2, v5, v2, v8
	v_add3_u32 v4, v3, v1, v4
	;; [unrolled: 1-line block ×3, first 2 shown]
	s_cbranch_scc0 .LBB10_62
; %bb.63:
	v_mov_b32_e32 v1, v4
	s_and_b32 s36, s71, 3
	s_cmp_eq_u32 s36, 0
	s_cbranch_scc0 .LBB10_66
	s_branch .LBB10_68
.LBB10_64:
                                        ; implicit-def: $vgpr4
                                        ; implicit-def: $vgpr0
                                        ; implicit-def: $vgpr2
	s_branch .LBB10_69
.LBB10_65:
	v_mov_b32_e32 v0, 0
	s_mov_b32 s20, 0
	v_mov_b32_e32 v1, v0
                                        ; implicit-def: $vgpr4
	v_mov_b32_e32 v6, v14
	v_mov_b32_e32 v2, v0
	s_and_b32 s36, s71, 3
	s_cmp_eq_u32 s36, 0
	s_cbranch_scc1 .LBB10_68
.LBB10_66:
	s_mul_i32 s2, s20, 12
	s_add_u32 s2, s27, s2
	s_addc_u32 s3, s33, 0
	s_add_u32 s2, s2, 4
	s_addc_u32 s3, s3, 0
.LBB10_67:                              ; =>This Inner Loop Header: Depth=1
	s_load_dwordx2 s[38:39], s[2:3], 0x0
	s_load_dword s20, s[2:3], 0x8
	s_load_dwordx2 s[40:41], s[2:3], 0xc0
	s_load_dword s37, s[2:3], 0xc8
	v_mov_b32_e32 v4, v1
	s_waitcnt lgkmcnt(0)
	v_mul_hi_u32 v1, s39, v6
	v_add_u32_e32 v1, v6, v1
	v_lshrrev_b32_e32 v1, s20, v1
	v_mul_lo_u32 v3, v1, s38
	s_add_u32 s2, s2, 12
	v_sub_u32_e32 v7, v6, v3
	s_addc_u32 s3, s3, 0
	s_add_i32 s36, s36, -1
	v_mov_b32_e32 v6, v1
	v_mad_u64_u32 v[4:5], s[38:39], v7, s37, v[4:5]
	v_mad_u64_u32 v[0:1], s[38:39], v7, s41, v[0:1]
	s_cmp_lg_u32 s36, 0
	v_mad_u64_u32 v[2:3], s[38:39], v7, s40, v[2:3]
	v_mov_b32_e32 v1, v4
	s_cbranch_scc1 .LBB10_67
.LBB10_68:
	s_cbranch_execnz .LBB10_71
.LBB10_69:
	v_mul_hi_u32 v0, s22, v14
	v_add_u32_e32 v0, v14, v0
	v_lshrrev_b32_e32 v1, s23, v0
	v_mul_lo_u32 v0, v1, s21
	v_sub_u32_e32 v0, v14, v0
	v_mul_lo_u32 v2, v0, s28
	v_mul_lo_u32 v4, v0, s30
	s_andn2_b64 vcc, exec, s[60:61]
	v_mul_lo_u32 v0, v0, s29
	s_cbranch_vccnz .LBB10_71
; %bb.70:
	v_mul_hi_u32 v3, s25, v1
	v_add_u32_e32 v3, v1, v3
	v_lshrrev_b32_e32 v3, s26, v3
	v_mul_lo_u32 v3, v3, s24
	v_sub_u32_e32 v5, v1, v3
	v_mad_u64_u32 v[2:3], s[2:3], v5, s31, v[2:3]
	v_mad_u64_u32 v[0:1], s[2:3], v5, s34, v[0:1]
	;; [unrolled: 1-line block ×3, first 2 shown]
.LBB10_71:
	global_load_dwordx2 v[4:5], v4, s[8:9]
	v_mov_b64_e32 v[6:7], 0
	s_waitcnt vmcnt(0)
	v_cmp_lt_i64_e32 vcc, s[10:11], v[4:5]
	s_and_saveexec_b64 s[36:37], vcc
	s_cbranch_execz .LBB10_77
; %bb.72:
	v_mov_b32_e32 v1, s11
	v_subrev_co_u32_e32 v8, vcc, s10, v4
	v_mov_b32_e32 v10, 0
	s_nop 0
	v_subb_co_u32_e32 v9, vcc, v5, v1, vcc
	v_or_b32_e32 v11, s13, v9
	v_cmp_ne_u64_e32 vcc, 0, v[10:11]
                                        ; implicit-def: $vgpr6_vgpr7
	s_and_saveexec_b64 s[2:3], vcc
	s_xor_b64 s[38:39], exec, s[2:3]
	s_cbranch_execz .LBB10_74
; %bb.73:
	s_ashr_i32 s40, s13, 31
	s_add_u32 s2, s12, s40
	s_mov_b32 s41, s40
	s_addc_u32 s3, s13, s40
	s_xor_b64 s[42:43], s[2:3], s[40:41]
	v_cvt_f32_u32_e32 v1, s42
	v_cvt_f32_u32_e32 v3, s43
	s_sub_u32 s20, 0, s42
	s_subb_u32 s41, 0, s43
	v_ashrrev_i32_e32 v6, 31, v9
	v_fmamk_f32 v1, v3, 0x4f800000, v1
	v_rcp_f32_e32 v1, v1
	v_mov_b32_e32 v7, v6
	v_lshl_add_u64 v[8:9], v[8:9], 0, v[6:7]
	v_mov_b32_e32 v13, v10
	v_mul_f32_e32 v1, 0x5f7ffffc, v1
	v_mul_f32_e32 v3, 0x2f800000, v1
	v_trunc_f32_e32 v3, v3
	v_fmamk_f32 v1, v3, 0xcf800000, v1
	v_cvt_u32_f32_e32 v3, v3
	v_cvt_u32_f32_e32 v1, v1
	v_readfirstlane_b32 s44, v3
	v_readfirstlane_b32 s2, v1
	s_mul_i32 s3, s20, s44
	s_mul_hi_u32 s46, s20, s2
	s_mul_i32 s45, s41, s2
	s_add_i32 s3, s46, s3
	s_add_i32 s3, s3, s45
	s_mul_i32 s47, s20, s2
	s_mul_i32 s46, s2, s3
	s_mul_hi_u32 s48, s2, s47
	s_mul_hi_u32 s45, s2, s3
	s_add_u32 s46, s48, s46
	s_addc_u32 s45, 0, s45
	s_mul_hi_u32 s49, s44, s47
	s_mul_i32 s47, s44, s47
	s_add_u32 s46, s46, s47
	s_mul_hi_u32 s48, s44, s3
	s_addc_u32 s45, s45, s49
	s_addc_u32 s46, s48, 0
	s_mul_i32 s3, s44, s3
	s_add_u32 s3, s45, s3
	s_addc_u32 s45, 0, s46
	s_add_u32 s46, s2, s3
	s_cselect_b64 s[2:3], -1, 0
	s_cmp_lg_u64 s[2:3], 0
	s_addc_u32 s44, s44, s45
	s_mul_i32 s2, s20, s44
	s_mul_hi_u32 s3, s20, s46
	s_add_i32 s2, s3, s2
	s_mul_i32 s41, s41, s46
	s_add_i32 s2, s2, s41
	s_mul_i32 s20, s20, s46
	s_mul_hi_u32 s41, s44, s20
	s_mul_i32 s45, s44, s20
	s_mul_i32 s48, s46, s2
	s_mul_hi_u32 s20, s46, s20
	s_mul_hi_u32 s47, s46, s2
	s_add_u32 s20, s20, s48
	s_addc_u32 s47, 0, s47
	s_add_u32 s20, s20, s45
	s_mul_hi_u32 s3, s44, s2
	s_addc_u32 s20, s47, s41
	s_addc_u32 s3, s3, 0
	s_mul_i32 s2, s44, s2
	s_add_u32 s2, s20, s2
	s_addc_u32 s20, 0, s3
	s_add_u32 s41, s46, s2
	s_cselect_b64 s[2:3], -1, 0
	s_cmp_lg_u64 s[2:3], 0
	s_addc_u32 s20, s44, s20
	v_xor_b32_e32 v3, v8, v6
	v_xor_b32_e32 v1, v9, v6
	v_mad_u64_u32 v[8:9], s[2:3], v3, s20, 0
	v_mul_hi_u32 v12, v3, s41
	v_lshl_add_u64 v[8:9], v[12:13], 0, v[8:9]
	v_mad_u64_u32 v[16:17], s[2:3], v1, s41, 0
	v_add_co_u32_e32 v7, vcc, v8, v16
	v_mad_u64_u32 v[12:13], s[2:3], v1, s20, 0
	s_nop 0
	v_addc_co_u32_e32 v8, vcc, v9, v17, vcc
	v_mov_b32_e32 v9, v10
	s_nop 0
	v_addc_co_u32_e32 v13, vcc, 0, v13, vcc
	v_lshl_add_u64 v[8:9], v[8:9], 0, v[12:13]
	v_mul_lo_u32 v7, s43, v8
	v_mul_lo_u32 v12, s42, v9
	v_mad_u64_u32 v[10:11], s[2:3], s42, v8, 0
	v_add3_u32 v7, v11, v12, v7
	v_sub_u32_e32 v11, v1, v7
	v_mov_b32_e32 v12, s43
	v_sub_co_u32_e32 v3, vcc, v3, v10
	s_nop 1
	v_subb_co_u32_e64 v10, s[2:3], v11, v12, vcc
	v_subrev_co_u32_e64 v11, s[2:3], s42, v3
	v_subb_co_u32_e32 v1, vcc, v1, v7, vcc
	s_nop 0
	v_subbrev_co_u32_e64 v10, s[2:3], 0, v10, s[2:3]
	v_cmp_le_u32_e64 s[2:3], s43, v10
	v_cmp_le_u32_e32 vcc, s43, v1
	s_nop 0
	v_cndmask_b32_e64 v12, 0, -1, s[2:3]
	v_cmp_le_u32_e64 s[2:3], s42, v11
	v_cndmask_b32_e64 v7, 0, -1, vcc
	v_cmp_le_u32_e32 vcc, s42, v3
	v_cndmask_b32_e64 v11, 0, -1, s[2:3]
	v_cmp_eq_u32_e64 s[2:3], s43, v10
	v_cndmask_b32_e64 v3, 0, -1, vcc
	v_cmp_eq_u32_e32 vcc, s43, v1
	v_cndmask_b32_e64 v15, v12, v11, s[2:3]
	v_lshl_add_u64 v[10:11], v[8:9], 0, 2
	v_lshl_add_u64 v[12:13], v[8:9], 0, 1
	v_cmp_ne_u32_e64 s[2:3], 0, v15
	v_cndmask_b32_e32 v1, v7, v3, vcc
	v_cmp_ne_u32_e32 vcc, 0, v1
	v_cndmask_b32_e64 v3, v12, v10, s[2:3]
	v_cndmask_b32_e64 v11, v13, v11, s[2:3]
	v_cndmask_b32_e32 v3, v8, v3, vcc
	v_xor_b32_e32 v7, s40, v6
	v_cndmask_b32_e32 v1, v9, v11, vcc
	v_xor_b32_e32 v3, v3, v7
	v_xor_b32_e32 v1, v1, v7
	v_sub_co_u32_e32 v6, vcc, v3, v7
                                        ; implicit-def: $vgpr8
	s_nop 1
	v_subb_co_u32_e32 v7, vcc, v1, v7, vcc
.LBB10_74:
	s_andn2_saveexec_b64 s[2:3], s[38:39]
	s_cbranch_execz .LBB10_76
; %bb.75:
	v_cvt_f32_u32_e32 v1, s12
	s_sub_i32 s20, 0, s12
	v_rcp_iflag_f32_e32 v1, v1
	s_nop 0
	v_mul_f32_e32 v1, 0x4f7ffffe, v1
	v_cvt_u32_f32_e32 v1, v1
	v_mul_lo_u32 v3, s20, v1
	v_mul_hi_u32 v3, v1, v3
	v_add_u32_e32 v1, v1, v3
	v_mul_hi_u32 v1, v8, v1
	v_mul_lo_u32 v3, v1, s12
	v_sub_u32_e32 v3, v8, v3
	v_add_u32_e32 v6, 1, v1
	v_subrev_u32_e32 v7, s12, v3
	v_cmp_le_u32_e32 vcc, s12, v3
	s_nop 1
	v_cndmask_b32_e32 v3, v3, v7, vcc
	v_cndmask_b32_e32 v1, v1, v6, vcc
	v_add_u32_e32 v6, 1, v1
	v_cmp_le_u32_e32 vcc, s12, v3
	v_mov_b32_e32 v7, 0
	s_nop 0
	v_cndmask_b32_e32 v6, v1, v6, vcc
.LBB10_76:
	s_or_b64 exec, exec, s[2:3]
.LBB10_77:
	s_or_b64 exec, exec, s[36:37]
	v_or_b32_e32 v9, s13, v5
	v_mov_b32_e32 v8, 0
	v_cmp_ne_u64_e32 vcc, 0, v[8:9]
                                        ; implicit-def: $vgpr10_vgpr11
	s_and_saveexec_b64 s[2:3], vcc
	s_xor_b64 s[36:37], exec, s[2:3]
	s_cbranch_execz .LBB10_79
; %bb.78:
	s_ashr_i32 s38, s13, 31
	s_add_u32 s2, s12, s38
	s_mov_b32 s39, s38
	s_addc_u32 s3, s13, s38
	s_xor_b64 s[40:41], s[2:3], s[38:39]
	v_cvt_f32_u32_e32 v1, s40
	v_cvt_f32_u32_e32 v3, s41
	s_sub_u32 s20, 0, s40
	s_subb_u32 s39, 0, s41
	v_ashrrev_i32_e32 v10, 31, v5
	v_fmamk_f32 v1, v3, 0x4f800000, v1
	v_rcp_f32_e32 v1, v1
	v_mov_b32_e32 v11, v10
	v_lshl_add_u64 v[12:13], v[4:5], 0, v[10:11]
	v_mov_b32_e32 v17, v8
	v_mul_f32_e32 v1, 0x5f7ffffc, v1
	v_mul_f32_e32 v3, 0x2f800000, v1
	v_trunc_f32_e32 v3, v3
	v_fmamk_f32 v1, v3, 0xcf800000, v1
	v_cvt_u32_f32_e32 v3, v3
	v_cvt_u32_f32_e32 v1, v1
	v_readfirstlane_b32 s42, v3
	v_readfirstlane_b32 s2, v1
	s_mul_i32 s3, s20, s42
	s_mul_hi_u32 s44, s20, s2
	s_mul_i32 s43, s39, s2
	s_add_i32 s3, s44, s3
	s_add_i32 s3, s3, s43
	s_mul_i32 s45, s20, s2
	s_mul_i32 s44, s2, s3
	s_mul_hi_u32 s46, s2, s45
	s_mul_hi_u32 s43, s2, s3
	s_add_u32 s44, s46, s44
	s_addc_u32 s43, 0, s43
	s_mul_hi_u32 s47, s42, s45
	s_mul_i32 s45, s42, s45
	s_add_u32 s44, s44, s45
	s_mul_hi_u32 s46, s42, s3
	s_addc_u32 s43, s43, s47
	s_addc_u32 s44, s46, 0
	s_mul_i32 s3, s42, s3
	s_add_u32 s3, s43, s3
	s_addc_u32 s43, 0, s44
	s_add_u32 s44, s2, s3
	s_cselect_b64 s[2:3], -1, 0
	s_cmp_lg_u64 s[2:3], 0
	s_addc_u32 s42, s42, s43
	s_mul_i32 s2, s20, s42
	s_mul_hi_u32 s3, s20, s44
	s_add_i32 s2, s3, s2
	s_mul_i32 s39, s39, s44
	s_add_i32 s2, s2, s39
	s_mul_i32 s20, s20, s44
	s_mul_hi_u32 s39, s42, s20
	s_mul_i32 s43, s42, s20
	s_mul_i32 s46, s44, s2
	s_mul_hi_u32 s20, s44, s20
	s_mul_hi_u32 s45, s44, s2
	s_add_u32 s20, s20, s46
	s_addc_u32 s45, 0, s45
	s_add_u32 s20, s20, s43
	s_mul_hi_u32 s3, s42, s2
	s_addc_u32 s20, s45, s39
	s_addc_u32 s3, s3, 0
	s_mul_i32 s2, s42, s2
	s_add_u32 s2, s20, s2
	s_addc_u32 s20, 0, s3
	s_add_u32 s39, s44, s2
	s_cselect_b64 s[2:3], -1, 0
	s_cmp_lg_u64 s[2:3], 0
	s_addc_u32 s20, s42, s20
	v_xor_b32_e32 v3, v12, v10
	v_xor_b32_e32 v1, v13, v10
	v_mad_u64_u32 v[12:13], s[2:3], v3, s20, 0
	v_mul_hi_u32 v16, v3, s39
	v_lshl_add_u64 v[12:13], v[16:17], 0, v[12:13]
	v_mad_u64_u32 v[18:19], s[2:3], v1, s39, 0
	v_add_co_u32_e32 v9, vcc, v12, v18
	v_mad_u64_u32 v[16:17], s[2:3], v1, s20, 0
	s_nop 0
	v_addc_co_u32_e32 v12, vcc, v13, v19, vcc
	v_mov_b32_e32 v13, v8
	s_nop 0
	v_addc_co_u32_e32 v17, vcc, 0, v17, vcc
	v_lshl_add_u64 v[8:9], v[12:13], 0, v[16:17]
	v_mul_lo_u32 v11, s41, v8
	v_mul_lo_u32 v15, s40, v9
	v_mad_u64_u32 v[12:13], s[2:3], s40, v8, 0
	v_add3_u32 v11, v13, v15, v11
	v_sub_u32_e32 v13, v1, v11
	v_mov_b32_e32 v15, s41
	v_sub_co_u32_e32 v3, vcc, v3, v12
	v_lshl_add_u64 v[16:17], v[8:9], 0, 1
	s_nop 0
	v_subb_co_u32_e64 v12, s[2:3], v13, v15, vcc
	v_subrev_co_u32_e64 v13, s[2:3], s40, v3
	v_subb_co_u32_e32 v1, vcc, v1, v11, vcc
	s_nop 0
	v_subbrev_co_u32_e64 v12, s[2:3], 0, v12, s[2:3]
	v_cmp_le_u32_e64 s[2:3], s41, v12
	v_cmp_le_u32_e32 vcc, s41, v1
	s_nop 0
	v_cndmask_b32_e64 v15, 0, -1, s[2:3]
	v_cmp_le_u32_e64 s[2:3], s40, v13
	v_cndmask_b32_e64 v11, 0, -1, vcc
	v_cmp_le_u32_e32 vcc, s40, v3
	v_cndmask_b32_e64 v13, 0, -1, s[2:3]
	v_cmp_eq_u32_e64 s[2:3], s41, v12
	v_cndmask_b32_e64 v3, 0, -1, vcc
	v_cmp_eq_u32_e32 vcc, s41, v1
	v_cndmask_b32_e64 v15, v15, v13, s[2:3]
	v_lshl_add_u64 v[12:13], v[8:9], 0, 2
	v_cmp_ne_u32_e64 s[2:3], 0, v15
	v_cndmask_b32_e32 v1, v11, v3, vcc
	v_cmp_ne_u32_e32 vcc, 0, v1
	v_cndmask_b32_e64 v3, v16, v12, s[2:3]
	v_cndmask_b32_e64 v13, v17, v13, s[2:3]
	v_cndmask_b32_e32 v3, v8, v3, vcc
	v_xor_b32_e32 v8, s38, v10
	v_cndmask_b32_e32 v1, v9, v13, vcc
	v_xor_b32_e32 v3, v3, v8
	v_xor_b32_e32 v1, v1, v8
	v_sub_co_u32_e32 v10, vcc, v3, v8
	s_nop 1
	v_subb_co_u32_e32 v11, vcc, v1, v8, vcc
.LBB10_79:
	s_andn2_saveexec_b64 s[2:3], s[36:37]
	s_cbranch_execz .LBB10_81
; %bb.80:
	v_cvt_f32_u32_e32 v1, s12
	s_sub_i32 s20, 0, s12
	v_mov_b32_e32 v11, 0
	v_rcp_iflag_f32_e32 v1, v1
	s_nop 0
	v_mul_f32_e32 v1, 0x4f7ffffe, v1
	v_cvt_u32_f32_e32 v1, v1
	v_mul_lo_u32 v3, s20, v1
	v_mul_hi_u32 v3, v1, v3
	v_add_u32_e32 v1, v1, v3
	v_mul_hi_u32 v1, v4, v1
	v_mul_lo_u32 v3, v1, s12
	v_sub_u32_e32 v3, v4, v3
	v_add_u32_e32 v8, 1, v1
	v_subrev_u32_e32 v9, s12, v3
	v_cmp_le_u32_e32 vcc, s12, v3
	s_nop 1
	v_cndmask_b32_e32 v3, v3, v9, vcc
	v_cndmask_b32_e32 v1, v1, v8, vcc
	v_add_u32_e32 v8, 1, v1
	v_cmp_le_u32_e32 vcc, s12, v3
	s_nop 1
	v_cndmask_b32_e32 v10, v1, v8, vcc
.LBB10_81:
	s_or_b64 exec, exec, s[2:3]
	v_mul_lo_u32 v1, v7, s12
	v_mul_lo_u32 v3, v6, s13
	v_mad_u64_u32 v[8:9], s[2:3], v6, s12, 0
	v_add3_u32 v9, v9, v3, v1
	v_cmp_gt_i64_e32 vcc, v[8:9], v[4:5]
	v_mov_b64_e32 v[8:9], s[10:11]
	v_mad_u64_u32 v[8:9], s[2:3], v6, s12, v[8:9]
	v_add3_u32 v9, v1, v9, v3
	v_cmp_ge_i64_e64 s[2:3], v[4:5], v[8:9]
	s_or_b64 s[2:3], vcc, s[2:3]
	v_mov_b32_e32 v1, s15
	v_cndmask_b32_e64 v8, 0, 1, s[2:3]
	s_mov_b32 s2, 0
	v_mov_b32_e32 v9, s2
	v_cmp_gt_i64_e32 vcc, s[14:15], v[10:11]
	v_lshl_add_u64 v[12:13], v[6:7], 0, v[8:9]
	s_nop 0
	v_cndmask_b32_e32 v7, v1, v11, vcc
	v_mov_b32_e32 v1, s14
	v_cndmask_b32_e32 v6, v1, v10, vcc
	v_cmp_le_i64_e32 vcc, v[12:13], v[6:7]
	s_and_saveexec_b64 s[2:3], vcc
	s_cbranch_execz .LBB10_84
; %bb.82:
	global_load_ubyte v10, v2, s[4:5]
	v_mul_lo_u32 v11, s13, v12
	v_mul_lo_u32 v15, s12, v13
	v_mad_u64_u32 v[16:17], s[36:37], s12, v12, 0
	v_mov_b32_e32 v3, 0
	v_add3_u32 v11, v17, v15, v11
	v_sub_co_u32_e32 v15, vcc, v4, v16
	v_lshl_add_u64 v[8:9], s[4:5], 0, v[2:3]
	v_mov_b32_e32 v1, v3
	v_lshl_add_u64 v[2:3], v[12:13], 0, -1
	v_subb_co_u32_e32 v11, vcc, v5, v11, vcc
	v_mul_lo_u32 v16, s17, v12
	v_mul_lo_u32 v13, s16, v13
	v_mad_u64_u32 v[4:5], s[36:37], s16, v12, 0
	v_add3_u32 v5, v5, v13, v16
	v_mad_u64_u32 v[4:5], s[36:37], s18, v15, v[4:5]
	s_mul_i32 s20, s12, s19
	s_mul_hi_u32 s36, s12, s18
	v_mul_lo_u32 v11, s18, v11
	v_mul_lo_u32 v12, s19, v15
	s_add_i32 s20, s36, s20
	s_mul_i32 s36, s13, s18
	v_add3_u32 v5, v12, v5, v11
	s_add_i32 s20, s20, s36
	s_mul_i32 s36, s12, s18
	v_lshl_add_u64 v[0:1], v[4:5], 0, v[0:1]
	s_sub_u32 s36, s16, s36
	v_lshl_add_u64 v[0:1], s[6:7], 0, v[0:1]
	s_subb_u32 s37, s17, s20
	s_mov_b64 s[38:39], 0
.LBB10_83:                              ; =>This Inner Loop Header: Depth=1
	global_load_ubyte v4, v[0:1], off
	v_lshl_add_u64 v[2:3], v[2:3], 0, 1
	v_cmp_ge_i64_e32 vcc, v[2:3], v[6:7]
	v_lshl_add_u64 v[0:1], v[0:1], 0, s[36:37]
	s_or_b64 s[38:39], vcc, s[38:39]
	s_waitcnt vmcnt(0)
	v_or_b32_e32 v10, v4, v10
	global_store_byte v[8:9], v10, off
	s_andn2_b64 exec, exec, s[38:39]
	s_cbranch_execnz .LBB10_83
.LBB10_84:
	s_or_b64 exec, exec, s[2:3]
	v_add_u32_e32 v14, 0x100, v14
	s_or_b64 exec, exec, s[66:67]
	v_cmp_gt_i32_e32 vcc, s70, v14
	s_and_saveexec_b64 s[2:3], vcc
	s_cbranch_execz .LBB10_111
.LBB10_85:
	s_and_b64 vcc, exec, s[0:1]
	s_cbranch_vccnz .LBB10_91
; %bb.86:
	v_mov_b32_e32 v4, 0
	s_andn2_b64 vcc, exec, s[64:65]
	v_mov_b32_e32 v0, 0
	v_mov_b32_e32 v2, 0
	s_cbranch_vccnz .LBB10_95
; %bb.87:
	s_add_i32 s69, s69, 1
	s_cmp_eq_u32 s68, 2
	s_cbranch_scc1 .LBB10_92
; %bb.88:
	s_and_b32 s20, s69, 28
	v_mov_b32_e32 v2, 0
	s_mov_b32 s56, 0
	v_mov_b32_e32 v6, v14
	v_mov_b32_e32 v0, 0
	v_mov_b32_e32 v4, 0
.LBB10_89:                              ; =>This Inner Loop Header: Depth=1
	s_load_dwordx8 s[36:43], s[62:63], 0x0
	s_load_dwordx4 s[0:3], s[62:63], 0x20
	s_load_dwordx4 s[52:55], s[62:63], 0xe0
	s_load_dwordx8 s[44:51], s[62:63], 0xc0
	s_add_i32 s56, s56, 4
	s_waitcnt lgkmcnt(0)
	v_mul_hi_u32 v1, s37, v6
	v_add_u32_e32 v1, v6, v1
	v_lshrrev_b32_e32 v1, s38, v1
	v_mul_hi_u32 v5, s40, v1
	v_add_u32_e32 v5, v1, v5
	v_lshrrev_b32_e32 v5, s41, v5
	v_mul_lo_u32 v3, v1, s36
	v_mul_lo_u32 v8, v5, s39
	v_mul_hi_u32 v9, s43, v5
	v_sub_u32_e32 v3, v6, v3
	v_sub_u32_e32 v1, v1, v8
	v_add_u32_e32 v8, v5, v9
	v_mul_lo_u32 v6, v3, s44
	v_mul_lo_u32 v7, v3, s46
	;; [unrolled: 1-line block ×6, first 2 shown]
	v_lshrrev_b32_e32 v8, s0, v8
	v_add3_u32 v0, v3, v0, v1
	v_add3_u32 v1, v7, v4, v10
	v_mul_hi_u32 v4, s2, v8
	v_add_u32_e32 v4, v8, v4
	v_add3_u32 v2, v6, v2, v9
	v_lshrrev_b32_e32 v6, s3, v4
	v_mul_lo_u32 v3, v8, s42
	v_mul_lo_u32 v4, v6, s1
	s_add_u32 s62, s62, 48
	v_sub_u32_e32 v3, v5, v3
	v_sub_u32_e32 v4, v8, v4
	s_addc_u32 s63, s63, 0
	v_mul_lo_u32 v5, v3, s50
	v_mul_lo_u32 v7, v3, s51
	;; [unrolled: 1-line block ×6, first 2 shown]
	s_cmp_eq_u32 s20, s56
	v_add3_u32 v2, v5, v2, v8
	v_add3_u32 v4, v3, v1, v4
	;; [unrolled: 1-line block ×3, first 2 shown]
	s_cbranch_scc0 .LBB10_89
; %bb.90:
	v_mov_b32_e32 v1, v4
	s_and_b32 s2, s69, 3
	s_cmp_eq_u32 s2, 0
	s_cbranch_scc0 .LBB10_93
	s_branch .LBB10_95
.LBB10_91:
                                        ; implicit-def: $vgpr4
                                        ; implicit-def: $vgpr0
                                        ; implicit-def: $vgpr2
	s_branch .LBB10_96
.LBB10_92:
	v_mov_b32_e32 v0, 0
	s_mov_b32 s20, 0
	v_mov_b32_e32 v1, v0
                                        ; implicit-def: $vgpr4
	v_mov_b32_e32 v6, v14
	v_mov_b32_e32 v2, v0
	s_and_b32 s2, s69, 3
	s_cmp_eq_u32 s2, 0
	s_cbranch_scc1 .LBB10_95
.LBB10_93:
	s_mul_i32 s0, s20, 12
	s_add_u32 s0, s27, s0
	s_addc_u32 s1, s33, 0
	s_add_u32 s0, s0, 4
	s_addc_u32 s1, s1, 0
.LBB10_94:                              ; =>This Inner Loop Header: Depth=1
	s_load_dwordx2 s[36:37], s[0:1], 0x0
	s_load_dword s3, s[0:1], 0x8
	s_load_dwordx2 s[38:39], s[0:1], 0xc0
	s_load_dword s20, s[0:1], 0xc8
	v_mov_b32_e32 v4, v1
	s_waitcnt lgkmcnt(0)
	v_mul_hi_u32 v1, s37, v6
	v_add_u32_e32 v1, v6, v1
	v_lshrrev_b32_e32 v1, s3, v1
	v_mul_lo_u32 v3, v1, s36
	s_add_u32 s0, s0, 12
	v_sub_u32_e32 v7, v6, v3
	s_addc_u32 s1, s1, 0
	s_add_i32 s2, s2, -1
	v_mov_b32_e32 v6, v1
	v_mad_u64_u32 v[4:5], s[36:37], v7, s20, v[4:5]
	v_mad_u64_u32 v[0:1], s[36:37], v7, s39, v[0:1]
	s_cmp_lg_u32 s2, 0
	v_mad_u64_u32 v[2:3], s[36:37], v7, s38, v[2:3]
	v_mov_b32_e32 v1, v4
	s_cbranch_scc1 .LBB10_94
.LBB10_95:
	s_cbranch_execnz .LBB10_98
.LBB10_96:
	v_mul_hi_u32 v0, s22, v14
	v_add_u32_e32 v0, v14, v0
	v_lshrrev_b32_e32 v1, s23, v0
	v_mul_lo_u32 v0, v1, s21
	v_sub_u32_e32 v0, v14, v0
	v_mul_lo_u32 v2, v0, s28
	v_mul_lo_u32 v4, v0, s30
	s_andn2_b64 vcc, exec, s[60:61]
	v_mul_lo_u32 v0, v0, s29
	s_cbranch_vccnz .LBB10_98
; %bb.97:
	v_mul_hi_u32 v3, s25, v1
	v_add_u32_e32 v3, v1, v3
	v_lshrrev_b32_e32 v3, s26, v3
	v_mul_lo_u32 v3, v3, s24
	v_sub_u32_e32 v5, v1, v3
	v_mad_u64_u32 v[2:3], s[0:1], v5, s31, v[2:3]
	v_mad_u64_u32 v[0:1], s[0:1], v5, s34, v[0:1]
	;; [unrolled: 1-line block ×3, first 2 shown]
.LBB10_98:
	global_load_dwordx2 v[4:5], v4, s[8:9]
	v_mov_b64_e32 v[6:7], 0
	s_waitcnt vmcnt(0)
	v_cmp_lt_i64_e32 vcc, s[10:11], v[4:5]
	s_and_saveexec_b64 s[2:3], vcc
	s_cbranch_execz .LBB10_104
; %bb.99:
	v_mov_b32_e32 v1, s11
	v_subrev_co_u32_e32 v8, vcc, s10, v4
	v_mov_b32_e32 v10, 0
	s_nop 0
	v_subb_co_u32_e32 v9, vcc, v5, v1, vcc
	v_or_b32_e32 v11, s13, v9
	v_cmp_ne_u64_e32 vcc, 0, v[10:11]
                                        ; implicit-def: $vgpr6_vgpr7
	s_and_saveexec_b64 s[0:1], vcc
	s_xor_b64 s[8:9], exec, s[0:1]
	s_cbranch_execz .LBB10_101
; %bb.100:
	s_ashr_i32 s20, s13, 31
	s_add_u32 s0, s12, s20
	s_mov_b32 s21, s20
	s_addc_u32 s1, s13, s20
	s_xor_b64 s[22:23], s[0:1], s[20:21]
	v_cvt_f32_u32_e32 v1, s22
	v_cvt_f32_u32_e32 v3, s23
	s_sub_u32 s21, 0, s22
	s_subb_u32 s24, 0, s23
	v_ashrrev_i32_e32 v6, 31, v9
	v_fmamk_f32 v1, v3, 0x4f800000, v1
	v_rcp_f32_e32 v1, v1
	v_mov_b32_e32 v7, v6
	v_lshl_add_u64 v[8:9], v[8:9], 0, v[6:7]
	v_mov_b32_e32 v13, v10
	v_mul_f32_e32 v1, 0x5f7ffffc, v1
	v_mul_f32_e32 v3, 0x2f800000, v1
	v_trunc_f32_e32 v3, v3
	v_fmamk_f32 v1, v3, 0xcf800000, v1
	v_cvt_u32_f32_e32 v3, v3
	v_cvt_u32_f32_e32 v1, v1
	v_readfirstlane_b32 s25, v3
	v_readfirstlane_b32 s0, v1
	s_mul_i32 s1, s21, s25
	s_mul_hi_u32 s27, s21, s0
	s_mul_i32 s26, s24, s0
	s_add_i32 s1, s27, s1
	s_add_i32 s1, s1, s26
	s_mul_i32 s28, s21, s0
	s_mul_i32 s27, s0, s1
	s_mul_hi_u32 s29, s0, s28
	s_mul_hi_u32 s26, s0, s1
	s_add_u32 s27, s29, s27
	s_addc_u32 s26, 0, s26
	s_mul_hi_u32 s30, s25, s28
	s_mul_i32 s28, s25, s28
	s_add_u32 s27, s27, s28
	s_mul_hi_u32 s29, s25, s1
	s_addc_u32 s26, s26, s30
	s_addc_u32 s27, s29, 0
	s_mul_i32 s1, s25, s1
	s_add_u32 s1, s26, s1
	s_addc_u32 s26, 0, s27
	s_add_u32 s27, s0, s1
	s_cselect_b64 s[0:1], -1, 0
	s_cmp_lg_u64 s[0:1], 0
	s_addc_u32 s25, s25, s26
	s_mul_i32 s0, s21, s25
	s_mul_hi_u32 s1, s21, s27
	s_add_i32 s0, s1, s0
	s_mul_i32 s24, s24, s27
	s_add_i32 s0, s0, s24
	s_mul_i32 s21, s21, s27
	s_mul_hi_u32 s24, s25, s21
	s_mul_i32 s26, s25, s21
	s_mul_i32 s29, s27, s0
	s_mul_hi_u32 s21, s27, s21
	s_mul_hi_u32 s28, s27, s0
	s_add_u32 s21, s21, s29
	s_addc_u32 s28, 0, s28
	s_add_u32 s21, s21, s26
	s_mul_hi_u32 s1, s25, s0
	s_addc_u32 s21, s28, s24
	s_addc_u32 s1, s1, 0
	s_mul_i32 s0, s25, s0
	s_add_u32 s0, s21, s0
	s_addc_u32 s21, 0, s1
	s_add_u32 s24, s27, s0
	s_cselect_b64 s[0:1], -1, 0
	s_cmp_lg_u64 s[0:1], 0
	s_addc_u32 s21, s25, s21
	v_xor_b32_e32 v3, v8, v6
	v_xor_b32_e32 v1, v9, v6
	v_mad_u64_u32 v[8:9], s[0:1], v3, s21, 0
	v_mul_hi_u32 v12, v3, s24
	v_lshl_add_u64 v[8:9], v[12:13], 0, v[8:9]
	v_mad_u64_u32 v[14:15], s[0:1], v1, s24, 0
	v_add_co_u32_e32 v7, vcc, v8, v14
	v_mad_u64_u32 v[12:13], s[0:1], v1, s21, 0
	s_nop 0
	v_addc_co_u32_e32 v8, vcc, v9, v15, vcc
	v_mov_b32_e32 v9, v10
	s_nop 0
	v_addc_co_u32_e32 v13, vcc, 0, v13, vcc
	v_lshl_add_u64 v[8:9], v[8:9], 0, v[12:13]
	v_mul_lo_u32 v7, s23, v8
	v_mul_lo_u32 v12, s22, v9
	v_mad_u64_u32 v[10:11], s[0:1], s22, v8, 0
	v_add3_u32 v7, v11, v12, v7
	v_sub_u32_e32 v11, v1, v7
	v_mov_b32_e32 v12, s23
	v_sub_co_u32_e32 v3, vcc, v3, v10
	s_nop 1
	v_subb_co_u32_e64 v10, s[0:1], v11, v12, vcc
	v_subrev_co_u32_e64 v11, s[0:1], s22, v3
	v_subb_co_u32_e32 v1, vcc, v1, v7, vcc
	s_nop 0
	v_subbrev_co_u32_e64 v10, s[0:1], 0, v10, s[0:1]
	v_cmp_le_u32_e64 s[0:1], s23, v10
	v_cmp_le_u32_e32 vcc, s23, v1
	s_nop 0
	v_cndmask_b32_e64 v12, 0, -1, s[0:1]
	v_cmp_le_u32_e64 s[0:1], s22, v11
	v_cndmask_b32_e64 v7, 0, -1, vcc
	v_cmp_le_u32_e32 vcc, s22, v3
	v_cndmask_b32_e64 v11, 0, -1, s[0:1]
	v_cmp_eq_u32_e64 s[0:1], s23, v10
	v_cndmask_b32_e64 v3, 0, -1, vcc
	v_cmp_eq_u32_e32 vcc, s23, v1
	v_cndmask_b32_e64 v14, v12, v11, s[0:1]
	v_lshl_add_u64 v[10:11], v[8:9], 0, 2
	v_lshl_add_u64 v[12:13], v[8:9], 0, 1
	v_cmp_ne_u32_e64 s[0:1], 0, v14
	v_cndmask_b32_e32 v1, v7, v3, vcc
	v_cmp_ne_u32_e32 vcc, 0, v1
	v_cndmask_b32_e64 v3, v12, v10, s[0:1]
	v_cndmask_b32_e64 v11, v13, v11, s[0:1]
	v_cndmask_b32_e32 v3, v8, v3, vcc
	v_xor_b32_e32 v7, s20, v6
	v_cndmask_b32_e32 v1, v9, v11, vcc
	v_xor_b32_e32 v3, v3, v7
	v_xor_b32_e32 v1, v1, v7
	v_sub_co_u32_e32 v6, vcc, v3, v7
                                        ; implicit-def: $vgpr8
	s_nop 1
	v_subb_co_u32_e32 v7, vcc, v1, v7, vcc
.LBB10_101:
	s_andn2_saveexec_b64 s[0:1], s[8:9]
	s_cbranch_execz .LBB10_103
; %bb.102:
	v_cvt_f32_u32_e32 v1, s12
	s_sub_i32 s8, 0, s12
	v_rcp_iflag_f32_e32 v1, v1
	s_nop 0
	v_mul_f32_e32 v1, 0x4f7ffffe, v1
	v_cvt_u32_f32_e32 v1, v1
	v_mul_lo_u32 v3, s8, v1
	v_mul_hi_u32 v3, v1, v3
	v_add_u32_e32 v1, v1, v3
	v_mul_hi_u32 v1, v8, v1
	v_mul_lo_u32 v3, v1, s12
	v_sub_u32_e32 v3, v8, v3
	v_add_u32_e32 v6, 1, v1
	v_subrev_u32_e32 v7, s12, v3
	v_cmp_le_u32_e32 vcc, s12, v3
	s_nop 1
	v_cndmask_b32_e32 v3, v3, v7, vcc
	v_cndmask_b32_e32 v1, v1, v6, vcc
	v_add_u32_e32 v6, 1, v1
	v_cmp_le_u32_e32 vcc, s12, v3
	v_mov_b32_e32 v7, 0
	s_nop 0
	v_cndmask_b32_e32 v6, v1, v6, vcc
.LBB10_103:
	s_or_b64 exec, exec, s[0:1]
.LBB10_104:
	s_or_b64 exec, exec, s[2:3]
	v_or_b32_e32 v9, s13, v5
	v_mov_b32_e32 v8, 0
	v_cmp_ne_u64_e32 vcc, 0, v[8:9]
                                        ; implicit-def: $vgpr10_vgpr11
	s_and_saveexec_b64 s[0:1], vcc
	s_xor_b64 s[2:3], exec, s[0:1]
	s_cbranch_execz .LBB10_106
; %bb.105:
	s_ashr_i32 s8, s13, 31
	s_add_u32 s0, s12, s8
	s_mov_b32 s9, s8
	s_addc_u32 s1, s13, s8
	s_xor_b64 s[20:21], s[0:1], s[8:9]
	v_cvt_f32_u32_e32 v1, s20
	v_cvt_f32_u32_e32 v3, s21
	s_sub_u32 s9, 0, s20
	s_subb_u32 s22, 0, s21
	v_ashrrev_i32_e32 v10, 31, v5
	v_fmamk_f32 v1, v3, 0x4f800000, v1
	v_rcp_f32_e32 v1, v1
	v_mov_b32_e32 v11, v10
	v_lshl_add_u64 v[12:13], v[4:5], 0, v[10:11]
	v_mov_b32_e32 v15, v8
	v_mul_f32_e32 v1, 0x5f7ffffc, v1
	v_mul_f32_e32 v3, 0x2f800000, v1
	v_trunc_f32_e32 v3, v3
	v_fmamk_f32 v1, v3, 0xcf800000, v1
	v_cvt_u32_f32_e32 v3, v3
	v_cvt_u32_f32_e32 v1, v1
	v_readfirstlane_b32 s23, v3
	v_readfirstlane_b32 s0, v1
	s_mul_i32 s1, s9, s23
	s_mul_hi_u32 s25, s9, s0
	s_mul_i32 s24, s22, s0
	s_add_i32 s1, s25, s1
	s_add_i32 s1, s1, s24
	s_mul_i32 s26, s9, s0
	s_mul_i32 s25, s0, s1
	s_mul_hi_u32 s27, s0, s26
	s_mul_hi_u32 s24, s0, s1
	s_add_u32 s25, s27, s25
	s_addc_u32 s24, 0, s24
	s_mul_hi_u32 s28, s23, s26
	s_mul_i32 s26, s23, s26
	s_add_u32 s25, s25, s26
	s_mul_hi_u32 s27, s23, s1
	s_addc_u32 s24, s24, s28
	s_addc_u32 s25, s27, 0
	s_mul_i32 s1, s23, s1
	s_add_u32 s1, s24, s1
	s_addc_u32 s24, 0, s25
	s_add_u32 s25, s0, s1
	s_cselect_b64 s[0:1], -1, 0
	s_cmp_lg_u64 s[0:1], 0
	s_addc_u32 s23, s23, s24
	s_mul_i32 s0, s9, s23
	s_mul_hi_u32 s1, s9, s25
	s_add_i32 s0, s1, s0
	s_mul_i32 s22, s22, s25
	s_add_i32 s0, s0, s22
	s_mul_i32 s9, s9, s25
	s_mul_hi_u32 s22, s23, s9
	s_mul_i32 s24, s23, s9
	s_mul_i32 s27, s25, s0
	s_mul_hi_u32 s9, s25, s9
	s_mul_hi_u32 s26, s25, s0
	s_add_u32 s9, s9, s27
	s_addc_u32 s26, 0, s26
	s_add_u32 s9, s9, s24
	s_mul_hi_u32 s1, s23, s0
	s_addc_u32 s9, s26, s22
	s_addc_u32 s1, s1, 0
	s_mul_i32 s0, s23, s0
	s_add_u32 s0, s9, s0
	s_addc_u32 s9, 0, s1
	s_add_u32 s22, s25, s0
	s_cselect_b64 s[0:1], -1, 0
	s_cmp_lg_u64 s[0:1], 0
	s_addc_u32 s9, s23, s9
	v_xor_b32_e32 v3, v12, v10
	v_xor_b32_e32 v1, v13, v10
	v_mad_u64_u32 v[12:13], s[0:1], v3, s9, 0
	v_mul_hi_u32 v14, v3, s22
	v_lshl_add_u64 v[12:13], v[14:15], 0, v[12:13]
	v_mad_u64_u32 v[16:17], s[0:1], v1, s22, 0
	v_add_co_u32_e32 v9, vcc, v12, v16
	v_mad_u64_u32 v[14:15], s[0:1], v1, s9, 0
	s_nop 0
	v_addc_co_u32_e32 v12, vcc, v13, v17, vcc
	v_mov_b32_e32 v13, v8
	s_nop 0
	v_addc_co_u32_e32 v15, vcc, 0, v15, vcc
	v_lshl_add_u64 v[8:9], v[12:13], 0, v[14:15]
	v_mul_lo_u32 v11, s21, v8
	v_mul_lo_u32 v14, s20, v9
	v_mad_u64_u32 v[12:13], s[0:1], s20, v8, 0
	v_add3_u32 v11, v13, v14, v11
	v_sub_u32_e32 v13, v1, v11
	v_mov_b32_e32 v14, s21
	v_sub_co_u32_e32 v3, vcc, v3, v12
	s_nop 1
	v_subb_co_u32_e64 v12, s[0:1], v13, v14, vcc
	v_subrev_co_u32_e64 v13, s[0:1], s20, v3
	v_subb_co_u32_e32 v1, vcc, v1, v11, vcc
	s_nop 0
	v_subbrev_co_u32_e64 v12, s[0:1], 0, v12, s[0:1]
	v_cmp_le_u32_e64 s[0:1], s21, v12
	v_cmp_le_u32_e32 vcc, s21, v1
	s_nop 0
	v_cndmask_b32_e64 v14, 0, -1, s[0:1]
	v_cmp_le_u32_e64 s[0:1], s20, v13
	v_cndmask_b32_e64 v11, 0, -1, vcc
	v_cmp_le_u32_e32 vcc, s20, v3
	v_cndmask_b32_e64 v13, 0, -1, s[0:1]
	v_cmp_eq_u32_e64 s[0:1], s21, v12
	v_cndmask_b32_e64 v3, 0, -1, vcc
	v_cmp_eq_u32_e32 vcc, s21, v1
	v_cndmask_b32_e64 v16, v14, v13, s[0:1]
	v_lshl_add_u64 v[12:13], v[8:9], 0, 2
	v_lshl_add_u64 v[14:15], v[8:9], 0, 1
	v_cmp_ne_u32_e64 s[0:1], 0, v16
	v_cndmask_b32_e32 v1, v11, v3, vcc
	v_cmp_ne_u32_e32 vcc, 0, v1
	v_cndmask_b32_e64 v3, v14, v12, s[0:1]
	v_cndmask_b32_e64 v13, v15, v13, s[0:1]
	v_cndmask_b32_e32 v3, v8, v3, vcc
	v_xor_b32_e32 v8, s8, v10
	v_cndmask_b32_e32 v1, v9, v13, vcc
	v_xor_b32_e32 v3, v3, v8
	v_xor_b32_e32 v1, v1, v8
	v_sub_co_u32_e32 v10, vcc, v3, v8
	s_nop 1
	v_subb_co_u32_e32 v11, vcc, v1, v8, vcc
.LBB10_106:
	s_andn2_saveexec_b64 s[0:1], s[2:3]
	s_cbranch_execz .LBB10_108
; %bb.107:
	v_cvt_f32_u32_e32 v1, s12
	s_sub_i32 s2, 0, s12
	v_mov_b32_e32 v11, 0
	v_rcp_iflag_f32_e32 v1, v1
	s_nop 0
	v_mul_f32_e32 v1, 0x4f7ffffe, v1
	v_cvt_u32_f32_e32 v1, v1
	v_mul_lo_u32 v3, s2, v1
	v_mul_hi_u32 v3, v1, v3
	v_add_u32_e32 v1, v1, v3
	v_mul_hi_u32 v1, v4, v1
	v_mul_lo_u32 v3, v1, s12
	v_sub_u32_e32 v3, v4, v3
	v_add_u32_e32 v8, 1, v1
	v_subrev_u32_e32 v9, s12, v3
	v_cmp_le_u32_e32 vcc, s12, v3
	s_nop 1
	v_cndmask_b32_e32 v3, v3, v9, vcc
	v_cndmask_b32_e32 v1, v1, v8, vcc
	v_add_u32_e32 v8, 1, v1
	v_cmp_le_u32_e32 vcc, s12, v3
	s_nop 1
	v_cndmask_b32_e32 v10, v1, v8, vcc
.LBB10_108:
	s_or_b64 exec, exec, s[0:1]
	v_mul_lo_u32 v1, v7, s12
	v_mul_lo_u32 v3, v6, s13
	v_mad_u64_u32 v[8:9], s[0:1], v6, s12, 0
	v_add3_u32 v9, v9, v3, v1
	v_cmp_gt_i64_e32 vcc, v[8:9], v[4:5]
	v_mov_b64_e32 v[8:9], s[10:11]
	v_mad_u64_u32 v[8:9], s[0:1], v6, s12, v[8:9]
	v_add3_u32 v9, v1, v9, v3
	v_cmp_ge_i64_e64 s[0:1], v[4:5], v[8:9]
	s_or_b64 s[0:1], vcc, s[0:1]
	v_mov_b32_e32 v1, s15
	v_cndmask_b32_e64 v8, 0, 1, s[0:1]
	s_mov_b32 s0, 0
	v_mov_b32_e32 v9, s0
	v_cmp_gt_i64_e32 vcc, s[14:15], v[10:11]
	v_lshl_add_u64 v[12:13], v[6:7], 0, v[8:9]
	s_nop 0
	v_cndmask_b32_e32 v7, v1, v11, vcc
	v_mov_b32_e32 v1, s14
	v_cndmask_b32_e32 v6, v1, v10, vcc
	v_cmp_le_i64_e32 vcc, v[12:13], v[6:7]
	s_and_b64 exec, exec, vcc
	s_cbranch_execz .LBB10_111
; %bb.109:
	global_load_ubyte v10, v2, s[4:5]
	v_mul_lo_u32 v11, s13, v12
	v_mul_lo_u32 v16, s12, v13
	v_mad_u64_u32 v[14:15], s[0:1], s12, v12, 0
	v_mov_b32_e32 v3, 0
	v_add3_u32 v11, v15, v16, v11
	v_sub_co_u32_e32 v14, vcc, v4, v14
	v_lshl_add_u64 v[8:9], s[4:5], 0, v[2:3]
	v_mov_b32_e32 v1, v3
	v_lshl_add_u64 v[2:3], v[12:13], 0, -1
	v_subb_co_u32_e32 v11, vcc, v5, v11, vcc
	v_mul_lo_u32 v15, s17, v12
	v_mul_lo_u32 v13, s16, v13
	v_mad_u64_u32 v[4:5], s[0:1], s16, v12, 0
	v_add3_u32 v5, v5, v13, v15
	v_mad_u64_u32 v[4:5], s[0:1], s18, v14, v[4:5]
	s_mul_i32 s0, s12, s19
	s_mul_hi_u32 s1, s12, s18
	v_mul_lo_u32 v11, s18, v11
	v_mul_lo_u32 v12, s19, v14
	s_add_i32 s0, s1, s0
	s_mul_i32 s1, s13, s18
	v_add3_u32 v5, v12, v5, v11
	s_add_i32 s1, s0, s1
	s_mul_i32 s0, s12, s18
	v_lshl_add_u64 v[0:1], v[4:5], 0, v[0:1]
	s_sub_u32 s0, s16, s0
	v_lshl_add_u64 v[0:1], s[6:7], 0, v[0:1]
	s_subb_u32 s1, s17, s1
	s_mov_b64 s[2:3], 0
.LBB10_110:                             ; =>This Inner Loop Header: Depth=1
	global_load_ubyte v4, v[0:1], off
	v_lshl_add_u64 v[2:3], v[2:3], 0, 1
	v_cmp_ge_i64_e32 vcc, v[2:3], v[6:7]
	v_lshl_add_u64 v[0:1], v[0:1], 0, s[0:1]
	s_or_b64 s[2:3], vcc, s[2:3]
	s_waitcnt vmcnt(0)
	v_or_b32_e32 v10, v4, v10
	global_store_byte v[8:9], v10, off
	s_andn2_b64 exec, exec, s[2:3]
	s_cbranch_execnz .LBB10_110
.LBB10_111:
	s_endpgm
	.section	.rodata,"a",@progbits
	.p2align	6, 0x0
	.amdhsa_kernel _ZN2at6native12_GLOBAL__N_135_unfold_backward_elementwise_kernelILi256ELi4EZNS1_32_unfold_backward_internal_kernelIbEEvRNS_14TensorIteratorEllllllEUliE_EEviT1_
		.amdhsa_group_segment_fixed_size 0
		.amdhsa_private_segment_fixed_size 0
		.amdhsa_kernarg_size 464
		.amdhsa_user_sgpr_count 2
		.amdhsa_user_sgpr_dispatch_ptr 0
		.amdhsa_user_sgpr_queue_ptr 0
		.amdhsa_user_sgpr_kernarg_segment_ptr 1
		.amdhsa_user_sgpr_dispatch_id 0
		.amdhsa_user_sgpr_kernarg_preload_length 0
		.amdhsa_user_sgpr_kernarg_preload_offset 0
		.amdhsa_user_sgpr_private_segment_size 0
		.amdhsa_uses_dynamic_stack 0
		.amdhsa_enable_private_segment 0
		.amdhsa_system_sgpr_workgroup_id_x 1
		.amdhsa_system_sgpr_workgroup_id_y 0
		.amdhsa_system_sgpr_workgroup_id_z 0
		.amdhsa_system_sgpr_workgroup_info 0
		.amdhsa_system_vgpr_workitem_id 0
		.amdhsa_next_free_vgpr 20
		.amdhsa_next_free_sgpr 73
		.amdhsa_accum_offset 20
		.amdhsa_reserve_vcc 1
		.amdhsa_float_round_mode_32 0
		.amdhsa_float_round_mode_16_64 0
		.amdhsa_float_denorm_mode_32 3
		.amdhsa_float_denorm_mode_16_64 3
		.amdhsa_dx10_clamp 1
		.amdhsa_ieee_mode 1
		.amdhsa_fp16_overflow 0
		.amdhsa_tg_split 0
		.amdhsa_exception_fp_ieee_invalid_op 0
		.amdhsa_exception_fp_denorm_src 0
		.amdhsa_exception_fp_ieee_div_zero 0
		.amdhsa_exception_fp_ieee_overflow 0
		.amdhsa_exception_fp_ieee_underflow 0
		.amdhsa_exception_fp_ieee_inexact 0
		.amdhsa_exception_int_div_zero 0
	.end_amdhsa_kernel
	.section	.text._ZN2at6native12_GLOBAL__N_135_unfold_backward_elementwise_kernelILi256ELi4EZNS1_32_unfold_backward_internal_kernelIbEEvRNS_14TensorIteratorEllllllEUliE_EEviT1_,"axG",@progbits,_ZN2at6native12_GLOBAL__N_135_unfold_backward_elementwise_kernelILi256ELi4EZNS1_32_unfold_backward_internal_kernelIbEEvRNS_14TensorIteratorEllllllEUliE_EEviT1_,comdat
.Lfunc_end10:
	.size	_ZN2at6native12_GLOBAL__N_135_unfold_backward_elementwise_kernelILi256ELi4EZNS1_32_unfold_backward_internal_kernelIbEEvRNS_14TensorIteratorEllllllEUliE_EEviT1_, .Lfunc_end10-_ZN2at6native12_GLOBAL__N_135_unfold_backward_elementwise_kernelILi256ELi4EZNS1_32_unfold_backward_internal_kernelIbEEvRNS_14TensorIteratorEllllllEUliE_EEviT1_
                                        ; -- End function
	.set _ZN2at6native12_GLOBAL__N_135_unfold_backward_elementwise_kernelILi256ELi4EZNS1_32_unfold_backward_internal_kernelIbEEvRNS_14TensorIteratorEllllllEUliE_EEviT1_.num_vgpr, 20
	.set _ZN2at6native12_GLOBAL__N_135_unfold_backward_elementwise_kernelILi256ELi4EZNS1_32_unfold_backward_internal_kernelIbEEvRNS_14TensorIteratorEllllllEUliE_EEviT1_.num_agpr, 0
	.set _ZN2at6native12_GLOBAL__N_135_unfold_backward_elementwise_kernelILi256ELi4EZNS1_32_unfold_backward_internal_kernelIbEEvRNS_14TensorIteratorEllllllEUliE_EEviT1_.numbered_sgpr, 73
	.set _ZN2at6native12_GLOBAL__N_135_unfold_backward_elementwise_kernelILi256ELi4EZNS1_32_unfold_backward_internal_kernelIbEEvRNS_14TensorIteratorEllllllEUliE_EEviT1_.num_named_barrier, 0
	.set _ZN2at6native12_GLOBAL__N_135_unfold_backward_elementwise_kernelILi256ELi4EZNS1_32_unfold_backward_internal_kernelIbEEvRNS_14TensorIteratorEllllllEUliE_EEviT1_.private_seg_size, 0
	.set _ZN2at6native12_GLOBAL__N_135_unfold_backward_elementwise_kernelILi256ELi4EZNS1_32_unfold_backward_internal_kernelIbEEvRNS_14TensorIteratorEllllllEUliE_EEviT1_.uses_vcc, 1
	.set _ZN2at6native12_GLOBAL__N_135_unfold_backward_elementwise_kernelILi256ELi4EZNS1_32_unfold_backward_internal_kernelIbEEvRNS_14TensorIteratorEllllllEUliE_EEviT1_.uses_flat_scratch, 0
	.set _ZN2at6native12_GLOBAL__N_135_unfold_backward_elementwise_kernelILi256ELi4EZNS1_32_unfold_backward_internal_kernelIbEEvRNS_14TensorIteratorEllllllEUliE_EEviT1_.has_dyn_sized_stack, 0
	.set _ZN2at6native12_GLOBAL__N_135_unfold_backward_elementwise_kernelILi256ELi4EZNS1_32_unfold_backward_internal_kernelIbEEvRNS_14TensorIteratorEllllllEUliE_EEviT1_.has_recursion, 0
	.set _ZN2at6native12_GLOBAL__N_135_unfold_backward_elementwise_kernelILi256ELi4EZNS1_32_unfold_backward_internal_kernelIbEEvRNS_14TensorIteratorEllllllEUliE_EEviT1_.has_indirect_call, 0
	.section	.AMDGPU.csdata,"",@progbits
; Kernel info:
; codeLenInByte = 10916
; TotalNumSgprs: 79
; NumVgprs: 20
; NumAgprs: 0
; TotalNumVgprs: 20
; ScratchSize: 0
; MemoryBound: 0
; FloatMode: 240
; IeeeMode: 1
; LDSByteSize: 0 bytes/workgroup (compile time only)
; SGPRBlocks: 9
; VGPRBlocks: 2
; NumSGPRsForWavesPerEU: 79
; NumVGPRsForWavesPerEU: 20
; AccumOffset: 20
; Occupancy: 8
; WaveLimiterHint : 1
; COMPUTE_PGM_RSRC2:SCRATCH_EN: 0
; COMPUTE_PGM_RSRC2:USER_SGPR: 2
; COMPUTE_PGM_RSRC2:TRAP_HANDLER: 0
; COMPUTE_PGM_RSRC2:TGID_X_EN: 1
; COMPUTE_PGM_RSRC2:TGID_Y_EN: 0
; COMPUTE_PGM_RSRC2:TGID_Z_EN: 0
; COMPUTE_PGM_RSRC2:TIDIG_COMP_CNT: 0
; COMPUTE_PGM_RSRC3_GFX90A:ACCUM_OFFSET: 4
; COMPUTE_PGM_RSRC3_GFX90A:TG_SPLIT: 0
	.section	.text._ZN2at6native12_GLOBAL__N_135_unfold_backward_elementwise_kernelILi256ELi4EZNS1_32_unfold_backward_internal_kernelIN3c108BFloat16EEEvRNS_14TensorIteratorEllllllEUliE_EEviT1_,"axG",@progbits,_ZN2at6native12_GLOBAL__N_135_unfold_backward_elementwise_kernelILi256ELi4EZNS1_32_unfold_backward_internal_kernelIN3c108BFloat16EEEvRNS_14TensorIteratorEllllllEUliE_EEviT1_,comdat
	.globl	_ZN2at6native12_GLOBAL__N_135_unfold_backward_elementwise_kernelILi256ELi4EZNS1_32_unfold_backward_internal_kernelIN3c108BFloat16EEEvRNS_14TensorIteratorEllllllEUliE_EEviT1_ ; -- Begin function _ZN2at6native12_GLOBAL__N_135_unfold_backward_elementwise_kernelILi256ELi4EZNS1_32_unfold_backward_internal_kernelIN3c108BFloat16EEEvRNS_14TensorIteratorEllllllEUliE_EEviT1_
	.p2align	8
	.type	_ZN2at6native12_GLOBAL__N_135_unfold_backward_elementwise_kernelILi256ELi4EZNS1_32_unfold_backward_internal_kernelIN3c108BFloat16EEEvRNS_14TensorIteratorEllllllEUliE_EEviT1_,@function
_ZN2at6native12_GLOBAL__N_135_unfold_backward_elementwise_kernelILi256ELi4EZNS1_32_unfold_backward_internal_kernelIN3c108BFloat16EEEvRNS_14TensorIteratorEllllllEUliE_EEviT1_: ; @_ZN2at6native12_GLOBAL__N_135_unfold_backward_elementwise_kernelILi256ELi4EZNS1_32_unfold_backward_internal_kernelIN3c108BFloat16EEEvRNS_14TensorIteratorEllllllEUliE_EEviT1_
; %bb.0:
	s_load_dword s70, s[0:1], 0x0
	s_load_dwordx8 s[20:27], s[0:1], 0x8
	v_lshl_or_b32 v14, s2, 10, v0
	s_waitcnt lgkmcnt(0)
	s_add_u32 s27, s0, 8
	s_load_dwordx16 s[4:19], s[0:1], 0x190
	s_load_dwordx4 s[28:31], s[0:1], 0xcc
	s_load_dwordx2 s[34:35], s[0:1], 0xdc
	s_addc_u32 s33, s1, 0
	v_sub_co_u32_e64 v0, s[2:3], s20, 1
	s_nop 0
	v_readfirstlane_b32 s68, v0
	s_xor_b64 s[64:65], s[2:3], -1
	s_or_b32 s62, s0, 12
	s_min_u32 s69, s68, 15
	s_mov_b32 s63, s1
	s_cmp_gt_u32 s20, 1
	v_cmp_lt_u32_e64 s[0:1], 1, v0
	s_cselect_b64 s[60:61], -1, 0
	s_waitcnt lgkmcnt(0)
	s_add_u32 s14, s14, -1
	v_cndmask_b32_e64 v0, 0, 1, s[0:1]
	s_mov_b64 s[2:3], -1
	s_addc_u32 s15, s15, -1
	v_cmp_gt_i32_e32 vcc, s70, v14
	v_cmp_ne_u32_e64 s[0:1], 1, v0
	s_and_saveexec_b64 s[66:67], vcc
	s_cbranch_execnz .LBB11_4
; %bb.1:
	s_or_b64 exec, exec, s[66:67]
	v_cmp_gt_i32_e32 vcc, s70, v14
	s_and_saveexec_b64 s[66:67], vcc
	s_cbranch_execnz .LBB11_31
.LBB11_2:
	s_or_b64 exec, exec, s[66:67]
	v_cmp_gt_i32_e32 vcc, s70, v14
	s_and_saveexec_b64 s[66:67], vcc
	s_cbranch_execnz .LBB11_58
.LBB11_3:
	s_or_b64 exec, exec, s[66:67]
	v_cmp_gt_i32_e32 vcc, s70, v14
	s_and_saveexec_b64 s[2:3], vcc
	s_cbranch_execnz .LBB11_85
	s_branch .LBB11_111
.LBB11_4:
	s_and_b64 vcc, exec, s[0:1]
                                        ; implicit-def: $vgpr4
                                        ; implicit-def: $vgpr0
                                        ; implicit-def: $vgpr2
	s_cbranch_vccnz .LBB11_14
; %bb.5:
	v_mov_b32_e32 v4, 0
	s_andn2_b64 vcc, exec, s[64:65]
	v_mov_b32_e32 v0, 0
	v_mov_b32_e32 v2, 0
	s_cbranch_vccnz .LBB11_13
; %bb.6:
	s_add_i32 s71, s69, 1
	s_cmp_eq_u32 s68, 2
	s_cbranch_scc1 .LBB11_10
; %bb.7:
	s_and_b32 s20, s71, 28
	v_mov_b32_e32 v2, 0
	s_mov_b32 s72, 0
	s_mov_b64 s[2:3], s[62:63]
	v_mov_b32_e32 v6, v14
	v_mov_b32_e32 v0, 0
	;; [unrolled: 1-line block ×3, first 2 shown]
.LBB11_8:                               ; =>This Inner Loop Header: Depth=1
	s_load_dwordx8 s[36:43], s[2:3], 0x0
	s_load_dwordx4 s[52:55], s[2:3], 0x20
	s_load_dwordx4 s[56:59], s[2:3], 0xe0
	s_load_dwordx8 s[44:51], s[2:3], 0xc0
	s_add_i32 s72, s72, 4
	s_waitcnt lgkmcnt(0)
	v_mul_hi_u32 v1, s37, v6
	v_add_u32_e32 v1, v6, v1
	v_lshrrev_b32_e32 v1, s38, v1
	v_mul_hi_u32 v5, s40, v1
	v_add_u32_e32 v5, v1, v5
	v_lshrrev_b32_e32 v5, s41, v5
	v_mul_lo_u32 v3, v1, s36
	v_mul_lo_u32 v8, v5, s39
	v_mul_hi_u32 v9, s43, v5
	v_sub_u32_e32 v3, v6, v3
	v_sub_u32_e32 v1, v1, v8
	v_add_u32_e32 v8, v5, v9
	v_mul_lo_u32 v6, v3, s44
	v_mul_lo_u32 v7, v3, s46
	;; [unrolled: 1-line block ×6, first 2 shown]
	v_lshrrev_b32_e32 v8, s52, v8
	v_add3_u32 v0, v3, v0, v1
	v_add3_u32 v1, v7, v4, v10
	v_mul_hi_u32 v4, s54, v8
	v_add_u32_e32 v4, v8, v4
	v_add3_u32 v2, v6, v2, v9
	v_lshrrev_b32_e32 v6, s55, v4
	v_mul_lo_u32 v3, v8, s42
	v_mul_lo_u32 v4, v6, s53
	s_add_u32 s2, s2, 48
	v_sub_u32_e32 v3, v5, v3
	v_sub_u32_e32 v4, v8, v4
	s_addc_u32 s3, s3, 0
	v_mul_lo_u32 v5, v3, s50
	v_mul_lo_u32 v7, v3, s51
	;; [unrolled: 1-line block ×6, first 2 shown]
	s_cmp_lg_u32 s20, s72
	v_add3_u32 v2, v5, v2, v8
	v_add3_u32 v4, v3, v1, v4
	;; [unrolled: 1-line block ×3, first 2 shown]
	s_cbranch_scc1 .LBB11_8
; %bb.9:
	v_mov_b32_e32 v1, v4
	s_and_b32 s36, s71, 3
	s_cmp_eq_u32 s36, 0
	s_cbranch_scc0 .LBB11_11
	s_branch .LBB11_13
.LBB11_10:
	v_mov_b32_e32 v0, 0
	s_mov_b32 s20, 0
	v_mov_b32_e32 v1, v0
                                        ; implicit-def: $vgpr4
	v_mov_b32_e32 v6, v14
	v_mov_b32_e32 v2, v0
	s_and_b32 s36, s71, 3
	s_cmp_eq_u32 s36, 0
	s_cbranch_scc1 .LBB11_13
.LBB11_11:
	s_mul_i32 s2, s20, 12
	s_add_u32 s2, s27, s2
	s_addc_u32 s3, s33, 0
	s_add_u32 s2, s2, 4
	s_addc_u32 s3, s3, 0
.LBB11_12:                              ; =>This Inner Loop Header: Depth=1
	s_load_dwordx2 s[38:39], s[2:3], 0x0
	s_load_dword s20, s[2:3], 0x8
	s_load_dwordx2 s[40:41], s[2:3], 0xc0
	s_load_dword s37, s[2:3], 0xc8
	v_mov_b32_e32 v4, v1
	s_waitcnt lgkmcnt(0)
	v_mul_hi_u32 v1, s39, v6
	v_add_u32_e32 v1, v6, v1
	v_lshrrev_b32_e32 v1, s20, v1
	v_mul_lo_u32 v3, v1, s38
	s_add_u32 s2, s2, 12
	v_sub_u32_e32 v7, v6, v3
	s_addc_u32 s3, s3, 0
	s_add_i32 s36, s36, -1
	v_mov_b32_e32 v6, v1
	v_mad_u64_u32 v[4:5], s[38:39], v7, s37, v[4:5]
	v_mad_u64_u32 v[0:1], s[38:39], v7, s41, v[0:1]
	s_cmp_lg_u32 s36, 0
	v_mad_u64_u32 v[2:3], s[38:39], v7, s40, v[2:3]
	v_mov_b32_e32 v1, v4
	s_cbranch_scc1 .LBB11_12
.LBB11_13:
	s_mov_b64 s[2:3], 0
.LBB11_14:
	s_andn2_b64 vcc, exec, s[2:3]
	s_cbranch_vccnz .LBB11_17
; %bb.15:
	v_mul_hi_u32 v0, s22, v14
	v_add_u32_e32 v0, v14, v0
	v_lshrrev_b32_e32 v1, s23, v0
	v_mul_lo_u32 v0, v1, s21
	v_sub_u32_e32 v0, v14, v0
	v_mul_lo_u32 v2, v0, s28
	v_mul_lo_u32 v4, v0, s30
	s_andn2_b64 vcc, exec, s[60:61]
	v_mul_lo_u32 v0, v0, s29
	s_cbranch_vccnz .LBB11_17
; %bb.16:
	v_mul_hi_u32 v3, s25, v1
	v_add_u32_e32 v3, v1, v3
	v_lshrrev_b32_e32 v3, s26, v3
	v_mul_lo_u32 v3, v3, s24
	v_sub_u32_e32 v5, v1, v3
	v_mad_u64_u32 v[2:3], s[2:3], v5, s31, v[2:3]
	v_mad_u64_u32 v[0:1], s[2:3], v5, s34, v[0:1]
	;; [unrolled: 1-line block ×3, first 2 shown]
.LBB11_17:
	global_load_dwordx2 v[4:5], v4, s[8:9]
	v_mov_b64_e32 v[6:7], 0
	s_waitcnt vmcnt(0)
	v_cmp_lt_i64_e32 vcc, s[10:11], v[4:5]
	s_and_saveexec_b64 s[36:37], vcc
	s_cbranch_execz .LBB11_23
; %bb.18:
	v_mov_b32_e32 v1, s11
	v_subrev_co_u32_e32 v8, vcc, s10, v4
	v_mov_b32_e32 v10, 0
	s_nop 0
	v_subb_co_u32_e32 v9, vcc, v5, v1, vcc
	v_or_b32_e32 v11, s13, v9
	v_cmp_ne_u64_e32 vcc, 0, v[10:11]
                                        ; implicit-def: $vgpr6_vgpr7
	s_and_saveexec_b64 s[2:3], vcc
	s_xor_b64 s[38:39], exec, s[2:3]
	s_cbranch_execz .LBB11_20
; %bb.19:
	s_ashr_i32 s40, s13, 31
	s_add_u32 s2, s12, s40
	s_mov_b32 s41, s40
	s_addc_u32 s3, s13, s40
	s_xor_b64 s[42:43], s[2:3], s[40:41]
	v_cvt_f32_u32_e32 v1, s42
	v_cvt_f32_u32_e32 v3, s43
	s_sub_u32 s20, 0, s42
	s_subb_u32 s41, 0, s43
	v_ashrrev_i32_e32 v6, 31, v9
	v_fmamk_f32 v1, v3, 0x4f800000, v1
	v_rcp_f32_e32 v1, v1
	v_mov_b32_e32 v7, v6
	v_lshl_add_u64 v[8:9], v[8:9], 0, v[6:7]
	v_mov_b32_e32 v13, v10
	v_mul_f32_e32 v1, 0x5f7ffffc, v1
	v_mul_f32_e32 v3, 0x2f800000, v1
	v_trunc_f32_e32 v3, v3
	v_fmamk_f32 v1, v3, 0xcf800000, v1
	v_cvt_u32_f32_e32 v3, v3
	v_cvt_u32_f32_e32 v1, v1
	v_readfirstlane_b32 s44, v3
	v_readfirstlane_b32 s2, v1
	s_mul_i32 s3, s20, s44
	s_mul_hi_u32 s46, s20, s2
	s_mul_i32 s45, s41, s2
	s_add_i32 s3, s46, s3
	s_add_i32 s3, s3, s45
	s_mul_i32 s47, s20, s2
	s_mul_i32 s46, s2, s3
	s_mul_hi_u32 s48, s2, s47
	s_mul_hi_u32 s45, s2, s3
	s_add_u32 s46, s48, s46
	s_addc_u32 s45, 0, s45
	s_mul_hi_u32 s49, s44, s47
	s_mul_i32 s47, s44, s47
	s_add_u32 s46, s46, s47
	s_mul_hi_u32 s48, s44, s3
	s_addc_u32 s45, s45, s49
	s_addc_u32 s46, s48, 0
	s_mul_i32 s3, s44, s3
	s_add_u32 s3, s45, s3
	s_addc_u32 s45, 0, s46
	s_add_u32 s46, s2, s3
	s_cselect_b64 s[2:3], -1, 0
	s_cmp_lg_u64 s[2:3], 0
	s_addc_u32 s44, s44, s45
	s_mul_i32 s2, s20, s44
	s_mul_hi_u32 s3, s20, s46
	s_add_i32 s2, s3, s2
	s_mul_i32 s41, s41, s46
	s_add_i32 s2, s2, s41
	s_mul_i32 s20, s20, s46
	s_mul_hi_u32 s41, s44, s20
	s_mul_i32 s45, s44, s20
	s_mul_i32 s48, s46, s2
	s_mul_hi_u32 s20, s46, s20
	s_mul_hi_u32 s47, s46, s2
	s_add_u32 s20, s20, s48
	s_addc_u32 s47, 0, s47
	s_add_u32 s20, s20, s45
	s_mul_hi_u32 s3, s44, s2
	s_addc_u32 s20, s47, s41
	s_addc_u32 s3, s3, 0
	s_mul_i32 s2, s44, s2
	s_add_u32 s2, s20, s2
	s_addc_u32 s20, 0, s3
	s_add_u32 s41, s46, s2
	s_cselect_b64 s[2:3], -1, 0
	s_cmp_lg_u64 s[2:3], 0
	s_addc_u32 s20, s44, s20
	v_xor_b32_e32 v3, v8, v6
	v_xor_b32_e32 v1, v9, v6
	v_mad_u64_u32 v[8:9], s[2:3], v3, s20, 0
	v_mul_hi_u32 v12, v3, s41
	v_lshl_add_u64 v[8:9], v[12:13], 0, v[8:9]
	v_mad_u64_u32 v[16:17], s[2:3], v1, s41, 0
	v_add_co_u32_e32 v7, vcc, v8, v16
	v_mad_u64_u32 v[12:13], s[2:3], v1, s20, 0
	s_nop 0
	v_addc_co_u32_e32 v8, vcc, v9, v17, vcc
	v_mov_b32_e32 v9, v10
	s_nop 0
	v_addc_co_u32_e32 v13, vcc, 0, v13, vcc
	v_lshl_add_u64 v[8:9], v[8:9], 0, v[12:13]
	v_mul_lo_u32 v7, s43, v8
	v_mul_lo_u32 v12, s42, v9
	v_mad_u64_u32 v[10:11], s[2:3], s42, v8, 0
	v_add3_u32 v7, v11, v12, v7
	v_sub_u32_e32 v11, v1, v7
	v_mov_b32_e32 v12, s43
	v_sub_co_u32_e32 v3, vcc, v3, v10
	s_nop 1
	v_subb_co_u32_e64 v10, s[2:3], v11, v12, vcc
	v_subrev_co_u32_e64 v11, s[2:3], s42, v3
	v_subb_co_u32_e32 v1, vcc, v1, v7, vcc
	s_nop 0
	v_subbrev_co_u32_e64 v10, s[2:3], 0, v10, s[2:3]
	v_cmp_le_u32_e64 s[2:3], s43, v10
	v_cmp_le_u32_e32 vcc, s43, v1
	s_nop 0
	v_cndmask_b32_e64 v12, 0, -1, s[2:3]
	v_cmp_le_u32_e64 s[2:3], s42, v11
	v_cndmask_b32_e64 v7, 0, -1, vcc
	v_cmp_le_u32_e32 vcc, s42, v3
	v_cndmask_b32_e64 v11, 0, -1, s[2:3]
	v_cmp_eq_u32_e64 s[2:3], s43, v10
	v_cndmask_b32_e64 v3, 0, -1, vcc
	v_cmp_eq_u32_e32 vcc, s43, v1
	v_cndmask_b32_e64 v15, v12, v11, s[2:3]
	v_lshl_add_u64 v[10:11], v[8:9], 0, 2
	v_lshl_add_u64 v[12:13], v[8:9], 0, 1
	v_cmp_ne_u32_e64 s[2:3], 0, v15
	v_cndmask_b32_e32 v1, v7, v3, vcc
	v_cmp_ne_u32_e32 vcc, 0, v1
	v_cndmask_b32_e64 v3, v12, v10, s[2:3]
	v_cndmask_b32_e64 v11, v13, v11, s[2:3]
	v_cndmask_b32_e32 v3, v8, v3, vcc
	v_xor_b32_e32 v7, s40, v6
	v_cndmask_b32_e32 v1, v9, v11, vcc
	v_xor_b32_e32 v3, v3, v7
	v_xor_b32_e32 v1, v1, v7
	v_sub_co_u32_e32 v6, vcc, v3, v7
                                        ; implicit-def: $vgpr8
	s_nop 1
	v_subb_co_u32_e32 v7, vcc, v1, v7, vcc
.LBB11_20:
	s_andn2_saveexec_b64 s[2:3], s[38:39]
	s_cbranch_execz .LBB11_22
; %bb.21:
	v_cvt_f32_u32_e32 v1, s12
	s_sub_i32 s20, 0, s12
	v_rcp_iflag_f32_e32 v1, v1
	s_nop 0
	v_mul_f32_e32 v1, 0x4f7ffffe, v1
	v_cvt_u32_f32_e32 v1, v1
	v_mul_lo_u32 v3, s20, v1
	v_mul_hi_u32 v3, v1, v3
	v_add_u32_e32 v1, v1, v3
	v_mul_hi_u32 v1, v8, v1
	v_mul_lo_u32 v3, v1, s12
	v_sub_u32_e32 v3, v8, v3
	v_add_u32_e32 v6, 1, v1
	v_subrev_u32_e32 v7, s12, v3
	v_cmp_le_u32_e32 vcc, s12, v3
	s_nop 1
	v_cndmask_b32_e32 v3, v3, v7, vcc
	v_cndmask_b32_e32 v1, v1, v6, vcc
	v_add_u32_e32 v6, 1, v1
	v_cmp_le_u32_e32 vcc, s12, v3
	v_mov_b32_e32 v7, 0
	s_nop 0
	v_cndmask_b32_e32 v6, v1, v6, vcc
.LBB11_22:
	s_or_b64 exec, exec, s[2:3]
.LBB11_23:
	s_or_b64 exec, exec, s[36:37]
	v_or_b32_e32 v9, s13, v5
	v_mov_b32_e32 v8, 0
	v_cmp_ne_u64_e32 vcc, 0, v[8:9]
                                        ; implicit-def: $vgpr10_vgpr11
	s_and_saveexec_b64 s[2:3], vcc
	s_xor_b64 s[36:37], exec, s[2:3]
	s_cbranch_execz .LBB11_25
; %bb.24:
	s_ashr_i32 s38, s13, 31
	s_add_u32 s2, s12, s38
	s_mov_b32 s39, s38
	s_addc_u32 s3, s13, s38
	s_xor_b64 s[40:41], s[2:3], s[38:39]
	v_cvt_f32_u32_e32 v1, s40
	v_cvt_f32_u32_e32 v3, s41
	s_sub_u32 s20, 0, s40
	s_subb_u32 s39, 0, s41
	v_ashrrev_i32_e32 v10, 31, v5
	v_fmamk_f32 v1, v3, 0x4f800000, v1
	v_rcp_f32_e32 v1, v1
	v_mov_b32_e32 v11, v10
	v_lshl_add_u64 v[12:13], v[4:5], 0, v[10:11]
	v_mov_b32_e32 v17, v8
	v_mul_f32_e32 v1, 0x5f7ffffc, v1
	v_mul_f32_e32 v3, 0x2f800000, v1
	v_trunc_f32_e32 v3, v3
	v_fmamk_f32 v1, v3, 0xcf800000, v1
	v_cvt_u32_f32_e32 v3, v3
	v_cvt_u32_f32_e32 v1, v1
	v_readfirstlane_b32 s42, v3
	v_readfirstlane_b32 s2, v1
	s_mul_i32 s3, s20, s42
	s_mul_hi_u32 s44, s20, s2
	s_mul_i32 s43, s39, s2
	s_add_i32 s3, s44, s3
	s_add_i32 s3, s3, s43
	s_mul_i32 s45, s20, s2
	s_mul_i32 s44, s2, s3
	s_mul_hi_u32 s46, s2, s45
	s_mul_hi_u32 s43, s2, s3
	s_add_u32 s44, s46, s44
	s_addc_u32 s43, 0, s43
	s_mul_hi_u32 s47, s42, s45
	s_mul_i32 s45, s42, s45
	s_add_u32 s44, s44, s45
	s_mul_hi_u32 s46, s42, s3
	s_addc_u32 s43, s43, s47
	s_addc_u32 s44, s46, 0
	s_mul_i32 s3, s42, s3
	s_add_u32 s3, s43, s3
	s_addc_u32 s43, 0, s44
	s_add_u32 s44, s2, s3
	s_cselect_b64 s[2:3], -1, 0
	s_cmp_lg_u64 s[2:3], 0
	s_addc_u32 s42, s42, s43
	s_mul_i32 s2, s20, s42
	s_mul_hi_u32 s3, s20, s44
	s_add_i32 s2, s3, s2
	s_mul_i32 s39, s39, s44
	s_add_i32 s2, s2, s39
	s_mul_i32 s20, s20, s44
	s_mul_hi_u32 s39, s42, s20
	s_mul_i32 s43, s42, s20
	s_mul_i32 s46, s44, s2
	s_mul_hi_u32 s20, s44, s20
	s_mul_hi_u32 s45, s44, s2
	s_add_u32 s20, s20, s46
	s_addc_u32 s45, 0, s45
	s_add_u32 s20, s20, s43
	s_mul_hi_u32 s3, s42, s2
	s_addc_u32 s20, s45, s39
	s_addc_u32 s3, s3, 0
	s_mul_i32 s2, s42, s2
	s_add_u32 s2, s20, s2
	s_addc_u32 s20, 0, s3
	s_add_u32 s39, s44, s2
	s_cselect_b64 s[2:3], -1, 0
	s_cmp_lg_u64 s[2:3], 0
	s_addc_u32 s20, s42, s20
	v_xor_b32_e32 v3, v12, v10
	v_xor_b32_e32 v1, v13, v10
	v_mad_u64_u32 v[12:13], s[2:3], v3, s20, 0
	v_mul_hi_u32 v16, v3, s39
	v_lshl_add_u64 v[12:13], v[16:17], 0, v[12:13]
	v_mad_u64_u32 v[18:19], s[2:3], v1, s39, 0
	v_add_co_u32_e32 v9, vcc, v12, v18
	v_mad_u64_u32 v[16:17], s[2:3], v1, s20, 0
	s_nop 0
	v_addc_co_u32_e32 v12, vcc, v13, v19, vcc
	v_mov_b32_e32 v13, v8
	s_nop 0
	v_addc_co_u32_e32 v17, vcc, 0, v17, vcc
	v_lshl_add_u64 v[8:9], v[12:13], 0, v[16:17]
	v_mul_lo_u32 v11, s41, v8
	v_mul_lo_u32 v15, s40, v9
	v_mad_u64_u32 v[12:13], s[2:3], s40, v8, 0
	v_add3_u32 v11, v13, v15, v11
	v_sub_u32_e32 v13, v1, v11
	v_mov_b32_e32 v15, s41
	v_sub_co_u32_e32 v3, vcc, v3, v12
	v_lshl_add_u64 v[16:17], v[8:9], 0, 1
	s_nop 0
	v_subb_co_u32_e64 v12, s[2:3], v13, v15, vcc
	v_subrev_co_u32_e64 v13, s[2:3], s40, v3
	v_subb_co_u32_e32 v1, vcc, v1, v11, vcc
	s_nop 0
	v_subbrev_co_u32_e64 v12, s[2:3], 0, v12, s[2:3]
	v_cmp_le_u32_e64 s[2:3], s41, v12
	v_cmp_le_u32_e32 vcc, s41, v1
	s_nop 0
	v_cndmask_b32_e64 v15, 0, -1, s[2:3]
	v_cmp_le_u32_e64 s[2:3], s40, v13
	v_cndmask_b32_e64 v11, 0, -1, vcc
	v_cmp_le_u32_e32 vcc, s40, v3
	v_cndmask_b32_e64 v13, 0, -1, s[2:3]
	v_cmp_eq_u32_e64 s[2:3], s41, v12
	v_cndmask_b32_e64 v3, 0, -1, vcc
	v_cmp_eq_u32_e32 vcc, s41, v1
	v_cndmask_b32_e64 v15, v15, v13, s[2:3]
	v_lshl_add_u64 v[12:13], v[8:9], 0, 2
	v_cmp_ne_u32_e64 s[2:3], 0, v15
	v_cndmask_b32_e32 v1, v11, v3, vcc
	v_cmp_ne_u32_e32 vcc, 0, v1
	v_cndmask_b32_e64 v3, v16, v12, s[2:3]
	v_cndmask_b32_e64 v13, v17, v13, s[2:3]
	v_cndmask_b32_e32 v3, v8, v3, vcc
	v_xor_b32_e32 v8, s38, v10
	v_cndmask_b32_e32 v1, v9, v13, vcc
	v_xor_b32_e32 v3, v3, v8
	v_xor_b32_e32 v1, v1, v8
	v_sub_co_u32_e32 v10, vcc, v3, v8
	s_nop 1
	v_subb_co_u32_e32 v11, vcc, v1, v8, vcc
.LBB11_25:
	s_andn2_saveexec_b64 s[2:3], s[36:37]
	s_cbranch_execz .LBB11_27
; %bb.26:
	v_cvt_f32_u32_e32 v1, s12
	s_sub_i32 s20, 0, s12
	v_mov_b32_e32 v11, 0
	v_rcp_iflag_f32_e32 v1, v1
	s_nop 0
	v_mul_f32_e32 v1, 0x4f7ffffe, v1
	v_cvt_u32_f32_e32 v1, v1
	v_mul_lo_u32 v3, s20, v1
	v_mul_hi_u32 v3, v1, v3
	v_add_u32_e32 v1, v1, v3
	v_mul_hi_u32 v1, v4, v1
	v_mul_lo_u32 v3, v1, s12
	v_sub_u32_e32 v3, v4, v3
	v_add_u32_e32 v8, 1, v1
	v_subrev_u32_e32 v9, s12, v3
	v_cmp_le_u32_e32 vcc, s12, v3
	s_nop 1
	v_cndmask_b32_e32 v3, v3, v9, vcc
	v_cndmask_b32_e32 v1, v1, v8, vcc
	v_add_u32_e32 v8, 1, v1
	v_cmp_le_u32_e32 vcc, s12, v3
	s_nop 1
	v_cndmask_b32_e32 v10, v1, v8, vcc
.LBB11_27:
	s_or_b64 exec, exec, s[2:3]
	v_mul_lo_u32 v1, v7, s12
	v_mul_lo_u32 v3, v6, s13
	v_mad_u64_u32 v[8:9], s[2:3], v6, s12, 0
	v_add3_u32 v9, v9, v3, v1
	v_cmp_gt_i64_e32 vcc, v[8:9], v[4:5]
	v_mov_b64_e32 v[8:9], s[10:11]
	v_mad_u64_u32 v[8:9], s[2:3], v6, s12, v[8:9]
	v_add3_u32 v9, v1, v9, v3
	v_cmp_ge_i64_e64 s[2:3], v[4:5], v[8:9]
	s_or_b64 s[2:3], vcc, s[2:3]
	v_mov_b32_e32 v1, s15
	v_cndmask_b32_e64 v8, 0, 1, s[2:3]
	s_mov_b32 s2, 0
	v_mov_b32_e32 v9, s2
	v_cmp_gt_i64_e32 vcc, s[14:15], v[10:11]
	v_lshl_add_u64 v[12:13], v[6:7], 0, v[8:9]
	s_nop 0
	v_cndmask_b32_e32 v7, v1, v11, vcc
	v_mov_b32_e32 v1, s14
	v_cndmask_b32_e32 v6, v1, v10, vcc
	v_cmp_le_i64_e32 vcc, v[12:13], v[6:7]
	s_and_saveexec_b64 s[2:3], vcc
	s_cbranch_execz .LBB11_30
; %bb.28:
	global_load_ushort v10, v2, s[4:5]
	v_mul_lo_u32 v11, s13, v12
	v_mul_lo_u32 v15, s12, v13
	v_mad_u64_u32 v[16:17], s[36:37], s12, v12, 0
	v_add3_u32 v11, v17, v15, v11
	v_sub_co_u32_e32 v4, vcc, v4, v16
	v_mov_b32_e32 v3, 0
	s_nop 0
	v_subb_co_u32_e32 v5, vcc, v5, v11, vcc
	v_mul_lo_u32 v11, s19, v4
	v_mul_lo_u32 v15, s18, v5
	v_mad_u64_u32 v[4:5], s[36:37], s18, v4, 0
	v_lshl_add_u64 v[8:9], s[4:5], 0, v[2:3]
	v_mov_b32_e32 v1, v3
	v_lshl_add_u64 v[2:3], v[12:13], 0, -1
	v_add3_u32 v5, v5, v15, v11
	v_mul_lo_u32 v11, s17, v12
	v_mul_lo_u32 v15, s16, v13
	v_mad_u64_u32 v[12:13], s[36:37], s16, v12, 0
	s_mul_i32 s20, s12, s19
	s_mul_hi_u32 s38, s12, s18
	v_add3_u32 v13, v13, v15, v11
	s_add_i32 s20, s38, s20
	s_mul_i32 s38, s13, s18
	v_lshlrev_b64 v[12:13], 1, v[12:13]
	s_add_i32 s39, s20, s38
	s_mul_i32 s38, s12, s18
	v_lshl_add_u64 v[4:5], v[4:5], 1, v[12:13]
	s_lshl_b64 s[36:37], s[16:17], 1
	s_lshl_b64 s[38:39], s[38:39], 1
	v_lshl_add_u64 v[0:1], v[4:5], 0, v[0:1]
	s_sub_u32 s36, s36, s38
	v_lshl_add_u64 v[0:1], s[6:7], 0, v[0:1]
	s_subb_u32 s37, s37, s39
	s_mov_b64 s[38:39], 0
	s_movk_i32 s20, 0x7fff
	v_mov_b32_e32 v4, 0x7fc0
.LBB11_29:                              ; =>This Inner Loop Header: Depth=1
	global_load_ushort v5, v[0:1], off
	s_waitcnt vmcnt(1)
	v_lshlrev_b32_e32 v10, 16, v10
	v_lshl_add_u64 v[2:3], v[2:3], 0, 1
	v_cmp_ge_i64_e32 vcc, v[2:3], v[6:7]
	s_or_b64 s[38:39], vcc, s[38:39]
	v_lshl_add_u64 v[0:1], v[0:1], 0, s[36:37]
	s_waitcnt vmcnt(0)
	v_lshlrev_b32_e32 v5, 16, v5
	v_add_f32_e32 v5, v5, v10
	v_bfe_u32 v10, v5, 16, 1
	v_cmp_o_f32_e32 vcc, v5, v5
	v_add3_u32 v5, v5, v10, s20
	s_nop 0
	v_cndmask_b32_sdwa v10, v4, v5, vcc dst_sel:DWORD dst_unused:UNUSED_PAD src0_sel:DWORD src1_sel:WORD_1
	global_store_short v[8:9], v10, off
	s_andn2_b64 exec, exec, s[38:39]
	s_cbranch_execnz .LBB11_29
.LBB11_30:
	s_or_b64 exec, exec, s[2:3]
	v_add_u32_e32 v14, 0x100, v14
	s_or_b64 exec, exec, s[66:67]
	v_cmp_gt_i32_e32 vcc, s70, v14
	s_and_saveexec_b64 s[66:67], vcc
	s_cbranch_execz .LBB11_2
.LBB11_31:
	s_and_b64 vcc, exec, s[0:1]
	s_cbranch_vccnz .LBB11_37
; %bb.32:
	v_mov_b32_e32 v4, 0
	s_andn2_b64 vcc, exec, s[64:65]
	v_mov_b32_e32 v0, 0
	v_mov_b32_e32 v2, 0
	s_cbranch_vccnz .LBB11_41
; %bb.33:
	s_add_i32 s71, s69, 1
	s_cmp_eq_u32 s68, 2
	s_cbranch_scc1 .LBB11_38
; %bb.34:
	s_and_b32 s20, s71, 28
	v_mov_b32_e32 v2, 0
	s_mov_b32 s72, 0
	s_mov_b64 s[2:3], s[62:63]
	v_mov_b32_e32 v6, v14
	v_mov_b32_e32 v0, 0
	;; [unrolled: 1-line block ×3, first 2 shown]
.LBB11_35:                              ; =>This Inner Loop Header: Depth=1
	s_load_dwordx8 s[36:43], s[2:3], 0x0
	s_load_dwordx4 s[52:55], s[2:3], 0x20
	s_load_dwordx4 s[56:59], s[2:3], 0xe0
	s_load_dwordx8 s[44:51], s[2:3], 0xc0
	s_add_i32 s72, s72, 4
	s_waitcnt lgkmcnt(0)
	v_mul_hi_u32 v1, s37, v6
	v_add_u32_e32 v1, v6, v1
	v_lshrrev_b32_e32 v1, s38, v1
	v_mul_hi_u32 v5, s40, v1
	v_add_u32_e32 v5, v1, v5
	v_lshrrev_b32_e32 v5, s41, v5
	v_mul_lo_u32 v3, v1, s36
	v_mul_lo_u32 v8, v5, s39
	v_mul_hi_u32 v9, s43, v5
	v_sub_u32_e32 v3, v6, v3
	v_sub_u32_e32 v1, v1, v8
	v_add_u32_e32 v8, v5, v9
	v_mul_lo_u32 v6, v3, s44
	v_mul_lo_u32 v7, v3, s46
	v_mul_lo_u32 v3, v3, s45
	v_mul_lo_u32 v9, v1, s47
	v_mul_lo_u32 v10, v1, s49
	v_mul_lo_u32 v1, v1, s48
	v_lshrrev_b32_e32 v8, s52, v8
	v_add3_u32 v0, v3, v0, v1
	v_add3_u32 v1, v7, v4, v10
	v_mul_hi_u32 v4, s54, v8
	v_add_u32_e32 v4, v8, v4
	v_add3_u32 v2, v6, v2, v9
	v_lshrrev_b32_e32 v6, s55, v4
	v_mul_lo_u32 v3, v8, s42
	v_mul_lo_u32 v4, v6, s53
	s_add_u32 s2, s2, 48
	v_sub_u32_e32 v3, v5, v3
	v_sub_u32_e32 v4, v8, v4
	s_addc_u32 s3, s3, 0
	v_mul_lo_u32 v5, v3, s50
	v_mul_lo_u32 v7, v3, s51
	;; [unrolled: 1-line block ×6, first 2 shown]
	s_cmp_eq_u32 s20, s72
	v_add3_u32 v2, v5, v2, v8
	v_add3_u32 v4, v3, v1, v4
	;; [unrolled: 1-line block ×3, first 2 shown]
	s_cbranch_scc0 .LBB11_35
; %bb.36:
	v_mov_b32_e32 v1, v4
	s_and_b32 s36, s71, 3
	s_cmp_eq_u32 s36, 0
	s_cbranch_scc0 .LBB11_39
	s_branch .LBB11_41
.LBB11_37:
                                        ; implicit-def: $vgpr4
                                        ; implicit-def: $vgpr0
                                        ; implicit-def: $vgpr2
	s_branch .LBB11_42
.LBB11_38:
	v_mov_b32_e32 v0, 0
	s_mov_b32 s20, 0
	v_mov_b32_e32 v1, v0
                                        ; implicit-def: $vgpr4
	v_mov_b32_e32 v6, v14
	v_mov_b32_e32 v2, v0
	s_and_b32 s36, s71, 3
	s_cmp_eq_u32 s36, 0
	s_cbranch_scc1 .LBB11_41
.LBB11_39:
	s_mul_i32 s2, s20, 12
	s_add_u32 s2, s27, s2
	s_addc_u32 s3, s33, 0
	s_add_u32 s2, s2, 4
	s_addc_u32 s3, s3, 0
.LBB11_40:                              ; =>This Inner Loop Header: Depth=1
	s_load_dwordx2 s[38:39], s[2:3], 0x0
	s_load_dword s20, s[2:3], 0x8
	s_load_dwordx2 s[40:41], s[2:3], 0xc0
	s_load_dword s37, s[2:3], 0xc8
	v_mov_b32_e32 v4, v1
	s_waitcnt lgkmcnt(0)
	v_mul_hi_u32 v1, s39, v6
	v_add_u32_e32 v1, v6, v1
	v_lshrrev_b32_e32 v1, s20, v1
	v_mul_lo_u32 v3, v1, s38
	s_add_u32 s2, s2, 12
	v_sub_u32_e32 v7, v6, v3
	s_addc_u32 s3, s3, 0
	s_add_i32 s36, s36, -1
	v_mov_b32_e32 v6, v1
	v_mad_u64_u32 v[4:5], s[38:39], v7, s37, v[4:5]
	v_mad_u64_u32 v[0:1], s[38:39], v7, s41, v[0:1]
	s_cmp_lg_u32 s36, 0
	v_mad_u64_u32 v[2:3], s[38:39], v7, s40, v[2:3]
	v_mov_b32_e32 v1, v4
	s_cbranch_scc1 .LBB11_40
.LBB11_41:
	s_cbranch_execnz .LBB11_44
.LBB11_42:
	v_mul_hi_u32 v0, s22, v14
	v_add_u32_e32 v0, v14, v0
	v_lshrrev_b32_e32 v1, s23, v0
	v_mul_lo_u32 v0, v1, s21
	v_sub_u32_e32 v0, v14, v0
	v_mul_lo_u32 v2, v0, s28
	v_mul_lo_u32 v4, v0, s30
	s_andn2_b64 vcc, exec, s[60:61]
	v_mul_lo_u32 v0, v0, s29
	s_cbranch_vccnz .LBB11_44
; %bb.43:
	v_mul_hi_u32 v3, s25, v1
	v_add_u32_e32 v3, v1, v3
	v_lshrrev_b32_e32 v3, s26, v3
	v_mul_lo_u32 v3, v3, s24
	v_sub_u32_e32 v5, v1, v3
	v_mad_u64_u32 v[2:3], s[2:3], v5, s31, v[2:3]
	v_mad_u64_u32 v[0:1], s[2:3], v5, s34, v[0:1]
	;; [unrolled: 1-line block ×3, first 2 shown]
.LBB11_44:
	global_load_dwordx2 v[4:5], v4, s[8:9]
	v_mov_b64_e32 v[6:7], 0
	s_waitcnt vmcnt(0)
	v_cmp_lt_i64_e32 vcc, s[10:11], v[4:5]
	s_and_saveexec_b64 s[36:37], vcc
	s_cbranch_execz .LBB11_50
; %bb.45:
	v_mov_b32_e32 v1, s11
	v_subrev_co_u32_e32 v8, vcc, s10, v4
	v_mov_b32_e32 v10, 0
	s_nop 0
	v_subb_co_u32_e32 v9, vcc, v5, v1, vcc
	v_or_b32_e32 v11, s13, v9
	v_cmp_ne_u64_e32 vcc, 0, v[10:11]
                                        ; implicit-def: $vgpr6_vgpr7
	s_and_saveexec_b64 s[2:3], vcc
	s_xor_b64 s[38:39], exec, s[2:3]
	s_cbranch_execz .LBB11_47
; %bb.46:
	s_ashr_i32 s40, s13, 31
	s_add_u32 s2, s12, s40
	s_mov_b32 s41, s40
	s_addc_u32 s3, s13, s40
	s_xor_b64 s[42:43], s[2:3], s[40:41]
	v_cvt_f32_u32_e32 v1, s42
	v_cvt_f32_u32_e32 v3, s43
	s_sub_u32 s20, 0, s42
	s_subb_u32 s41, 0, s43
	v_ashrrev_i32_e32 v6, 31, v9
	v_fmamk_f32 v1, v3, 0x4f800000, v1
	v_rcp_f32_e32 v1, v1
	v_mov_b32_e32 v7, v6
	v_lshl_add_u64 v[8:9], v[8:9], 0, v[6:7]
	v_mov_b32_e32 v13, v10
	v_mul_f32_e32 v1, 0x5f7ffffc, v1
	v_mul_f32_e32 v3, 0x2f800000, v1
	v_trunc_f32_e32 v3, v3
	v_fmamk_f32 v1, v3, 0xcf800000, v1
	v_cvt_u32_f32_e32 v3, v3
	v_cvt_u32_f32_e32 v1, v1
	v_readfirstlane_b32 s44, v3
	v_readfirstlane_b32 s2, v1
	s_mul_i32 s3, s20, s44
	s_mul_hi_u32 s46, s20, s2
	s_mul_i32 s45, s41, s2
	s_add_i32 s3, s46, s3
	s_add_i32 s3, s3, s45
	s_mul_i32 s47, s20, s2
	s_mul_i32 s46, s2, s3
	s_mul_hi_u32 s48, s2, s47
	s_mul_hi_u32 s45, s2, s3
	s_add_u32 s46, s48, s46
	s_addc_u32 s45, 0, s45
	s_mul_hi_u32 s49, s44, s47
	s_mul_i32 s47, s44, s47
	s_add_u32 s46, s46, s47
	s_mul_hi_u32 s48, s44, s3
	s_addc_u32 s45, s45, s49
	s_addc_u32 s46, s48, 0
	s_mul_i32 s3, s44, s3
	s_add_u32 s3, s45, s3
	s_addc_u32 s45, 0, s46
	s_add_u32 s46, s2, s3
	s_cselect_b64 s[2:3], -1, 0
	s_cmp_lg_u64 s[2:3], 0
	s_addc_u32 s44, s44, s45
	s_mul_i32 s2, s20, s44
	s_mul_hi_u32 s3, s20, s46
	s_add_i32 s2, s3, s2
	s_mul_i32 s41, s41, s46
	s_add_i32 s2, s2, s41
	s_mul_i32 s20, s20, s46
	s_mul_hi_u32 s41, s44, s20
	s_mul_i32 s45, s44, s20
	s_mul_i32 s48, s46, s2
	s_mul_hi_u32 s20, s46, s20
	s_mul_hi_u32 s47, s46, s2
	s_add_u32 s20, s20, s48
	s_addc_u32 s47, 0, s47
	s_add_u32 s20, s20, s45
	s_mul_hi_u32 s3, s44, s2
	s_addc_u32 s20, s47, s41
	s_addc_u32 s3, s3, 0
	s_mul_i32 s2, s44, s2
	s_add_u32 s2, s20, s2
	s_addc_u32 s20, 0, s3
	s_add_u32 s41, s46, s2
	s_cselect_b64 s[2:3], -1, 0
	s_cmp_lg_u64 s[2:3], 0
	s_addc_u32 s20, s44, s20
	v_xor_b32_e32 v3, v8, v6
	v_xor_b32_e32 v1, v9, v6
	v_mad_u64_u32 v[8:9], s[2:3], v3, s20, 0
	v_mul_hi_u32 v12, v3, s41
	v_lshl_add_u64 v[8:9], v[12:13], 0, v[8:9]
	v_mad_u64_u32 v[16:17], s[2:3], v1, s41, 0
	v_add_co_u32_e32 v7, vcc, v8, v16
	v_mad_u64_u32 v[12:13], s[2:3], v1, s20, 0
	s_nop 0
	v_addc_co_u32_e32 v8, vcc, v9, v17, vcc
	v_mov_b32_e32 v9, v10
	s_nop 0
	v_addc_co_u32_e32 v13, vcc, 0, v13, vcc
	v_lshl_add_u64 v[8:9], v[8:9], 0, v[12:13]
	v_mul_lo_u32 v7, s43, v8
	v_mul_lo_u32 v12, s42, v9
	v_mad_u64_u32 v[10:11], s[2:3], s42, v8, 0
	v_add3_u32 v7, v11, v12, v7
	v_sub_u32_e32 v11, v1, v7
	v_mov_b32_e32 v12, s43
	v_sub_co_u32_e32 v3, vcc, v3, v10
	s_nop 1
	v_subb_co_u32_e64 v10, s[2:3], v11, v12, vcc
	v_subrev_co_u32_e64 v11, s[2:3], s42, v3
	v_subb_co_u32_e32 v1, vcc, v1, v7, vcc
	s_nop 0
	v_subbrev_co_u32_e64 v10, s[2:3], 0, v10, s[2:3]
	v_cmp_le_u32_e64 s[2:3], s43, v10
	v_cmp_le_u32_e32 vcc, s43, v1
	s_nop 0
	v_cndmask_b32_e64 v12, 0, -1, s[2:3]
	v_cmp_le_u32_e64 s[2:3], s42, v11
	v_cndmask_b32_e64 v7, 0, -1, vcc
	v_cmp_le_u32_e32 vcc, s42, v3
	v_cndmask_b32_e64 v11, 0, -1, s[2:3]
	v_cmp_eq_u32_e64 s[2:3], s43, v10
	v_cndmask_b32_e64 v3, 0, -1, vcc
	v_cmp_eq_u32_e32 vcc, s43, v1
	v_cndmask_b32_e64 v15, v12, v11, s[2:3]
	v_lshl_add_u64 v[10:11], v[8:9], 0, 2
	v_lshl_add_u64 v[12:13], v[8:9], 0, 1
	v_cmp_ne_u32_e64 s[2:3], 0, v15
	v_cndmask_b32_e32 v1, v7, v3, vcc
	v_cmp_ne_u32_e32 vcc, 0, v1
	v_cndmask_b32_e64 v3, v12, v10, s[2:3]
	v_cndmask_b32_e64 v11, v13, v11, s[2:3]
	v_cndmask_b32_e32 v3, v8, v3, vcc
	v_xor_b32_e32 v7, s40, v6
	v_cndmask_b32_e32 v1, v9, v11, vcc
	v_xor_b32_e32 v3, v3, v7
	v_xor_b32_e32 v1, v1, v7
	v_sub_co_u32_e32 v6, vcc, v3, v7
                                        ; implicit-def: $vgpr8
	s_nop 1
	v_subb_co_u32_e32 v7, vcc, v1, v7, vcc
.LBB11_47:
	s_andn2_saveexec_b64 s[2:3], s[38:39]
	s_cbranch_execz .LBB11_49
; %bb.48:
	v_cvt_f32_u32_e32 v1, s12
	s_sub_i32 s20, 0, s12
	v_rcp_iflag_f32_e32 v1, v1
	s_nop 0
	v_mul_f32_e32 v1, 0x4f7ffffe, v1
	v_cvt_u32_f32_e32 v1, v1
	v_mul_lo_u32 v3, s20, v1
	v_mul_hi_u32 v3, v1, v3
	v_add_u32_e32 v1, v1, v3
	v_mul_hi_u32 v1, v8, v1
	v_mul_lo_u32 v3, v1, s12
	v_sub_u32_e32 v3, v8, v3
	v_add_u32_e32 v6, 1, v1
	v_subrev_u32_e32 v7, s12, v3
	v_cmp_le_u32_e32 vcc, s12, v3
	s_nop 1
	v_cndmask_b32_e32 v3, v3, v7, vcc
	v_cndmask_b32_e32 v1, v1, v6, vcc
	v_add_u32_e32 v6, 1, v1
	v_cmp_le_u32_e32 vcc, s12, v3
	v_mov_b32_e32 v7, 0
	s_nop 0
	v_cndmask_b32_e32 v6, v1, v6, vcc
.LBB11_49:
	s_or_b64 exec, exec, s[2:3]
.LBB11_50:
	s_or_b64 exec, exec, s[36:37]
	v_or_b32_e32 v9, s13, v5
	v_mov_b32_e32 v8, 0
	v_cmp_ne_u64_e32 vcc, 0, v[8:9]
                                        ; implicit-def: $vgpr10_vgpr11
	s_and_saveexec_b64 s[2:3], vcc
	s_xor_b64 s[36:37], exec, s[2:3]
	s_cbranch_execz .LBB11_52
; %bb.51:
	s_ashr_i32 s38, s13, 31
	s_add_u32 s2, s12, s38
	s_mov_b32 s39, s38
	s_addc_u32 s3, s13, s38
	s_xor_b64 s[40:41], s[2:3], s[38:39]
	v_cvt_f32_u32_e32 v1, s40
	v_cvt_f32_u32_e32 v3, s41
	s_sub_u32 s20, 0, s40
	s_subb_u32 s39, 0, s41
	v_ashrrev_i32_e32 v10, 31, v5
	v_fmamk_f32 v1, v3, 0x4f800000, v1
	v_rcp_f32_e32 v1, v1
	v_mov_b32_e32 v11, v10
	v_lshl_add_u64 v[12:13], v[4:5], 0, v[10:11]
	v_mov_b32_e32 v17, v8
	v_mul_f32_e32 v1, 0x5f7ffffc, v1
	v_mul_f32_e32 v3, 0x2f800000, v1
	v_trunc_f32_e32 v3, v3
	v_fmamk_f32 v1, v3, 0xcf800000, v1
	v_cvt_u32_f32_e32 v3, v3
	v_cvt_u32_f32_e32 v1, v1
	v_readfirstlane_b32 s42, v3
	v_readfirstlane_b32 s2, v1
	s_mul_i32 s3, s20, s42
	s_mul_hi_u32 s44, s20, s2
	s_mul_i32 s43, s39, s2
	s_add_i32 s3, s44, s3
	s_add_i32 s3, s3, s43
	s_mul_i32 s45, s20, s2
	s_mul_i32 s44, s2, s3
	s_mul_hi_u32 s46, s2, s45
	s_mul_hi_u32 s43, s2, s3
	s_add_u32 s44, s46, s44
	s_addc_u32 s43, 0, s43
	s_mul_hi_u32 s47, s42, s45
	s_mul_i32 s45, s42, s45
	s_add_u32 s44, s44, s45
	s_mul_hi_u32 s46, s42, s3
	s_addc_u32 s43, s43, s47
	s_addc_u32 s44, s46, 0
	s_mul_i32 s3, s42, s3
	s_add_u32 s3, s43, s3
	s_addc_u32 s43, 0, s44
	s_add_u32 s44, s2, s3
	s_cselect_b64 s[2:3], -1, 0
	s_cmp_lg_u64 s[2:3], 0
	s_addc_u32 s42, s42, s43
	s_mul_i32 s2, s20, s42
	s_mul_hi_u32 s3, s20, s44
	s_add_i32 s2, s3, s2
	s_mul_i32 s39, s39, s44
	s_add_i32 s2, s2, s39
	s_mul_i32 s20, s20, s44
	s_mul_hi_u32 s39, s42, s20
	s_mul_i32 s43, s42, s20
	s_mul_i32 s46, s44, s2
	s_mul_hi_u32 s20, s44, s20
	s_mul_hi_u32 s45, s44, s2
	s_add_u32 s20, s20, s46
	s_addc_u32 s45, 0, s45
	s_add_u32 s20, s20, s43
	s_mul_hi_u32 s3, s42, s2
	s_addc_u32 s20, s45, s39
	s_addc_u32 s3, s3, 0
	s_mul_i32 s2, s42, s2
	s_add_u32 s2, s20, s2
	s_addc_u32 s20, 0, s3
	s_add_u32 s39, s44, s2
	s_cselect_b64 s[2:3], -1, 0
	s_cmp_lg_u64 s[2:3], 0
	s_addc_u32 s20, s42, s20
	v_xor_b32_e32 v3, v12, v10
	v_xor_b32_e32 v1, v13, v10
	v_mad_u64_u32 v[12:13], s[2:3], v3, s20, 0
	v_mul_hi_u32 v16, v3, s39
	v_lshl_add_u64 v[12:13], v[16:17], 0, v[12:13]
	v_mad_u64_u32 v[18:19], s[2:3], v1, s39, 0
	v_add_co_u32_e32 v9, vcc, v12, v18
	v_mad_u64_u32 v[16:17], s[2:3], v1, s20, 0
	s_nop 0
	v_addc_co_u32_e32 v12, vcc, v13, v19, vcc
	v_mov_b32_e32 v13, v8
	s_nop 0
	v_addc_co_u32_e32 v17, vcc, 0, v17, vcc
	v_lshl_add_u64 v[8:9], v[12:13], 0, v[16:17]
	v_mul_lo_u32 v11, s41, v8
	v_mul_lo_u32 v15, s40, v9
	v_mad_u64_u32 v[12:13], s[2:3], s40, v8, 0
	v_add3_u32 v11, v13, v15, v11
	v_sub_u32_e32 v13, v1, v11
	v_mov_b32_e32 v15, s41
	v_sub_co_u32_e32 v3, vcc, v3, v12
	v_lshl_add_u64 v[16:17], v[8:9], 0, 1
	s_nop 0
	v_subb_co_u32_e64 v12, s[2:3], v13, v15, vcc
	v_subrev_co_u32_e64 v13, s[2:3], s40, v3
	v_subb_co_u32_e32 v1, vcc, v1, v11, vcc
	s_nop 0
	v_subbrev_co_u32_e64 v12, s[2:3], 0, v12, s[2:3]
	v_cmp_le_u32_e64 s[2:3], s41, v12
	v_cmp_le_u32_e32 vcc, s41, v1
	s_nop 0
	v_cndmask_b32_e64 v15, 0, -1, s[2:3]
	v_cmp_le_u32_e64 s[2:3], s40, v13
	v_cndmask_b32_e64 v11, 0, -1, vcc
	v_cmp_le_u32_e32 vcc, s40, v3
	v_cndmask_b32_e64 v13, 0, -1, s[2:3]
	v_cmp_eq_u32_e64 s[2:3], s41, v12
	v_cndmask_b32_e64 v3, 0, -1, vcc
	v_cmp_eq_u32_e32 vcc, s41, v1
	v_cndmask_b32_e64 v15, v15, v13, s[2:3]
	v_lshl_add_u64 v[12:13], v[8:9], 0, 2
	v_cmp_ne_u32_e64 s[2:3], 0, v15
	v_cndmask_b32_e32 v1, v11, v3, vcc
	v_cmp_ne_u32_e32 vcc, 0, v1
	v_cndmask_b32_e64 v3, v16, v12, s[2:3]
	v_cndmask_b32_e64 v13, v17, v13, s[2:3]
	v_cndmask_b32_e32 v3, v8, v3, vcc
	v_xor_b32_e32 v8, s38, v10
	v_cndmask_b32_e32 v1, v9, v13, vcc
	v_xor_b32_e32 v3, v3, v8
	v_xor_b32_e32 v1, v1, v8
	v_sub_co_u32_e32 v10, vcc, v3, v8
	s_nop 1
	v_subb_co_u32_e32 v11, vcc, v1, v8, vcc
.LBB11_52:
	s_andn2_saveexec_b64 s[2:3], s[36:37]
	s_cbranch_execz .LBB11_54
; %bb.53:
	v_cvt_f32_u32_e32 v1, s12
	s_sub_i32 s20, 0, s12
	v_mov_b32_e32 v11, 0
	v_rcp_iflag_f32_e32 v1, v1
	s_nop 0
	v_mul_f32_e32 v1, 0x4f7ffffe, v1
	v_cvt_u32_f32_e32 v1, v1
	v_mul_lo_u32 v3, s20, v1
	v_mul_hi_u32 v3, v1, v3
	v_add_u32_e32 v1, v1, v3
	v_mul_hi_u32 v1, v4, v1
	v_mul_lo_u32 v3, v1, s12
	v_sub_u32_e32 v3, v4, v3
	v_add_u32_e32 v8, 1, v1
	v_subrev_u32_e32 v9, s12, v3
	v_cmp_le_u32_e32 vcc, s12, v3
	s_nop 1
	v_cndmask_b32_e32 v3, v3, v9, vcc
	v_cndmask_b32_e32 v1, v1, v8, vcc
	v_add_u32_e32 v8, 1, v1
	v_cmp_le_u32_e32 vcc, s12, v3
	s_nop 1
	v_cndmask_b32_e32 v10, v1, v8, vcc
.LBB11_54:
	s_or_b64 exec, exec, s[2:3]
	v_mul_lo_u32 v1, v7, s12
	v_mul_lo_u32 v3, v6, s13
	v_mad_u64_u32 v[8:9], s[2:3], v6, s12, 0
	v_add3_u32 v9, v9, v3, v1
	v_cmp_gt_i64_e32 vcc, v[8:9], v[4:5]
	v_mov_b64_e32 v[8:9], s[10:11]
	v_mad_u64_u32 v[8:9], s[2:3], v6, s12, v[8:9]
	v_add3_u32 v9, v1, v9, v3
	v_cmp_ge_i64_e64 s[2:3], v[4:5], v[8:9]
	s_or_b64 s[2:3], vcc, s[2:3]
	v_mov_b32_e32 v1, s15
	v_cndmask_b32_e64 v8, 0, 1, s[2:3]
	s_mov_b32 s2, 0
	v_mov_b32_e32 v9, s2
	v_cmp_gt_i64_e32 vcc, s[14:15], v[10:11]
	v_lshl_add_u64 v[12:13], v[6:7], 0, v[8:9]
	s_nop 0
	v_cndmask_b32_e32 v7, v1, v11, vcc
	v_mov_b32_e32 v1, s14
	v_cndmask_b32_e32 v6, v1, v10, vcc
	v_cmp_le_i64_e32 vcc, v[12:13], v[6:7]
	s_and_saveexec_b64 s[2:3], vcc
	s_cbranch_execz .LBB11_57
; %bb.55:
	global_load_ushort v10, v2, s[4:5]
	v_mul_lo_u32 v11, s13, v12
	v_mul_lo_u32 v15, s12, v13
	v_mad_u64_u32 v[16:17], s[36:37], s12, v12, 0
	v_add3_u32 v11, v17, v15, v11
	v_sub_co_u32_e32 v4, vcc, v4, v16
	v_mov_b32_e32 v3, 0
	s_nop 0
	v_subb_co_u32_e32 v5, vcc, v5, v11, vcc
	v_mul_lo_u32 v11, s19, v4
	v_mul_lo_u32 v15, s18, v5
	v_mad_u64_u32 v[4:5], s[36:37], s18, v4, 0
	v_lshl_add_u64 v[8:9], s[4:5], 0, v[2:3]
	v_mov_b32_e32 v1, v3
	v_lshl_add_u64 v[2:3], v[12:13], 0, -1
	v_add3_u32 v5, v5, v15, v11
	v_mul_lo_u32 v11, s17, v12
	v_mul_lo_u32 v15, s16, v13
	v_mad_u64_u32 v[12:13], s[36:37], s16, v12, 0
	s_mul_i32 s20, s12, s19
	s_mul_hi_u32 s38, s12, s18
	v_add3_u32 v13, v13, v15, v11
	s_add_i32 s20, s38, s20
	s_mul_i32 s38, s13, s18
	v_lshlrev_b64 v[12:13], 1, v[12:13]
	s_add_i32 s39, s20, s38
	s_mul_i32 s38, s12, s18
	v_lshl_add_u64 v[4:5], v[4:5], 1, v[12:13]
	s_lshl_b64 s[36:37], s[16:17], 1
	s_lshl_b64 s[38:39], s[38:39], 1
	v_lshl_add_u64 v[0:1], v[4:5], 0, v[0:1]
	s_sub_u32 s36, s36, s38
	v_lshl_add_u64 v[0:1], s[6:7], 0, v[0:1]
	s_subb_u32 s37, s37, s39
	s_mov_b64 s[38:39], 0
	s_movk_i32 s20, 0x7fff
	v_mov_b32_e32 v4, 0x7fc0
.LBB11_56:                              ; =>This Inner Loop Header: Depth=1
	global_load_ushort v5, v[0:1], off
	s_waitcnt vmcnt(1)
	v_lshlrev_b32_e32 v10, 16, v10
	v_lshl_add_u64 v[2:3], v[2:3], 0, 1
	v_cmp_ge_i64_e32 vcc, v[2:3], v[6:7]
	s_or_b64 s[38:39], vcc, s[38:39]
	v_lshl_add_u64 v[0:1], v[0:1], 0, s[36:37]
	s_waitcnt vmcnt(0)
	v_lshlrev_b32_e32 v5, 16, v5
	v_add_f32_e32 v5, v5, v10
	v_bfe_u32 v10, v5, 16, 1
	v_cmp_o_f32_e32 vcc, v5, v5
	v_add3_u32 v5, v5, v10, s20
	s_nop 0
	v_cndmask_b32_sdwa v10, v4, v5, vcc dst_sel:DWORD dst_unused:UNUSED_PAD src0_sel:DWORD src1_sel:WORD_1
	global_store_short v[8:9], v10, off
	s_andn2_b64 exec, exec, s[38:39]
	s_cbranch_execnz .LBB11_56
.LBB11_57:
	s_or_b64 exec, exec, s[2:3]
	v_add_u32_e32 v14, 0x100, v14
	s_or_b64 exec, exec, s[66:67]
	v_cmp_gt_i32_e32 vcc, s70, v14
	s_and_saveexec_b64 s[66:67], vcc
	s_cbranch_execz .LBB11_3
.LBB11_58:
	s_and_b64 vcc, exec, s[0:1]
	s_cbranch_vccnz .LBB11_64
; %bb.59:
	v_mov_b32_e32 v4, 0
	s_andn2_b64 vcc, exec, s[64:65]
	v_mov_b32_e32 v0, 0
	v_mov_b32_e32 v2, 0
	s_cbranch_vccnz .LBB11_68
; %bb.60:
	s_add_i32 s71, s69, 1
	s_cmp_eq_u32 s68, 2
	s_cbranch_scc1 .LBB11_65
; %bb.61:
	s_and_b32 s20, s71, 28
	v_mov_b32_e32 v2, 0
	s_mov_b32 s72, 0
	s_mov_b64 s[2:3], s[62:63]
	v_mov_b32_e32 v6, v14
	v_mov_b32_e32 v0, 0
	;; [unrolled: 1-line block ×3, first 2 shown]
.LBB11_62:                              ; =>This Inner Loop Header: Depth=1
	s_load_dwordx8 s[36:43], s[2:3], 0x0
	s_load_dwordx4 s[52:55], s[2:3], 0x20
	s_load_dwordx4 s[56:59], s[2:3], 0xe0
	s_load_dwordx8 s[44:51], s[2:3], 0xc0
	s_add_i32 s72, s72, 4
	s_waitcnt lgkmcnt(0)
	v_mul_hi_u32 v1, s37, v6
	v_add_u32_e32 v1, v6, v1
	v_lshrrev_b32_e32 v1, s38, v1
	v_mul_hi_u32 v5, s40, v1
	v_add_u32_e32 v5, v1, v5
	v_lshrrev_b32_e32 v5, s41, v5
	v_mul_lo_u32 v3, v1, s36
	v_mul_lo_u32 v8, v5, s39
	v_mul_hi_u32 v9, s43, v5
	v_sub_u32_e32 v3, v6, v3
	v_sub_u32_e32 v1, v1, v8
	v_add_u32_e32 v8, v5, v9
	v_mul_lo_u32 v6, v3, s44
	v_mul_lo_u32 v7, v3, s46
	;; [unrolled: 1-line block ×6, first 2 shown]
	v_lshrrev_b32_e32 v8, s52, v8
	v_add3_u32 v0, v3, v0, v1
	v_add3_u32 v1, v7, v4, v10
	v_mul_hi_u32 v4, s54, v8
	v_add_u32_e32 v4, v8, v4
	v_add3_u32 v2, v6, v2, v9
	v_lshrrev_b32_e32 v6, s55, v4
	v_mul_lo_u32 v3, v8, s42
	v_mul_lo_u32 v4, v6, s53
	s_add_u32 s2, s2, 48
	v_sub_u32_e32 v3, v5, v3
	v_sub_u32_e32 v4, v8, v4
	s_addc_u32 s3, s3, 0
	v_mul_lo_u32 v5, v3, s50
	v_mul_lo_u32 v7, v3, s51
	;; [unrolled: 1-line block ×6, first 2 shown]
	s_cmp_eq_u32 s20, s72
	v_add3_u32 v2, v5, v2, v8
	v_add3_u32 v4, v3, v1, v4
	;; [unrolled: 1-line block ×3, first 2 shown]
	s_cbranch_scc0 .LBB11_62
; %bb.63:
	v_mov_b32_e32 v1, v4
	s_and_b32 s36, s71, 3
	s_cmp_eq_u32 s36, 0
	s_cbranch_scc0 .LBB11_66
	s_branch .LBB11_68
.LBB11_64:
                                        ; implicit-def: $vgpr4
                                        ; implicit-def: $vgpr0
                                        ; implicit-def: $vgpr2
	s_branch .LBB11_69
.LBB11_65:
	v_mov_b32_e32 v0, 0
	s_mov_b32 s20, 0
	v_mov_b32_e32 v1, v0
                                        ; implicit-def: $vgpr4
	v_mov_b32_e32 v6, v14
	v_mov_b32_e32 v2, v0
	s_and_b32 s36, s71, 3
	s_cmp_eq_u32 s36, 0
	s_cbranch_scc1 .LBB11_68
.LBB11_66:
	s_mul_i32 s2, s20, 12
	s_add_u32 s2, s27, s2
	s_addc_u32 s3, s33, 0
	s_add_u32 s2, s2, 4
	s_addc_u32 s3, s3, 0
.LBB11_67:                              ; =>This Inner Loop Header: Depth=1
	s_load_dwordx2 s[38:39], s[2:3], 0x0
	s_load_dword s20, s[2:3], 0x8
	s_load_dwordx2 s[40:41], s[2:3], 0xc0
	s_load_dword s37, s[2:3], 0xc8
	v_mov_b32_e32 v4, v1
	s_waitcnt lgkmcnt(0)
	v_mul_hi_u32 v1, s39, v6
	v_add_u32_e32 v1, v6, v1
	v_lshrrev_b32_e32 v1, s20, v1
	v_mul_lo_u32 v3, v1, s38
	s_add_u32 s2, s2, 12
	v_sub_u32_e32 v7, v6, v3
	s_addc_u32 s3, s3, 0
	s_add_i32 s36, s36, -1
	v_mov_b32_e32 v6, v1
	v_mad_u64_u32 v[4:5], s[38:39], v7, s37, v[4:5]
	v_mad_u64_u32 v[0:1], s[38:39], v7, s41, v[0:1]
	s_cmp_lg_u32 s36, 0
	v_mad_u64_u32 v[2:3], s[38:39], v7, s40, v[2:3]
	v_mov_b32_e32 v1, v4
	s_cbranch_scc1 .LBB11_67
.LBB11_68:
	s_cbranch_execnz .LBB11_71
.LBB11_69:
	v_mul_hi_u32 v0, s22, v14
	v_add_u32_e32 v0, v14, v0
	v_lshrrev_b32_e32 v1, s23, v0
	v_mul_lo_u32 v0, v1, s21
	v_sub_u32_e32 v0, v14, v0
	v_mul_lo_u32 v2, v0, s28
	v_mul_lo_u32 v4, v0, s30
	s_andn2_b64 vcc, exec, s[60:61]
	v_mul_lo_u32 v0, v0, s29
	s_cbranch_vccnz .LBB11_71
; %bb.70:
	v_mul_hi_u32 v3, s25, v1
	v_add_u32_e32 v3, v1, v3
	v_lshrrev_b32_e32 v3, s26, v3
	v_mul_lo_u32 v3, v3, s24
	v_sub_u32_e32 v5, v1, v3
	v_mad_u64_u32 v[2:3], s[2:3], v5, s31, v[2:3]
	v_mad_u64_u32 v[0:1], s[2:3], v5, s34, v[0:1]
	;; [unrolled: 1-line block ×3, first 2 shown]
.LBB11_71:
	global_load_dwordx2 v[4:5], v4, s[8:9]
	v_mov_b64_e32 v[6:7], 0
	s_waitcnt vmcnt(0)
	v_cmp_lt_i64_e32 vcc, s[10:11], v[4:5]
	s_and_saveexec_b64 s[36:37], vcc
	s_cbranch_execz .LBB11_77
; %bb.72:
	v_mov_b32_e32 v1, s11
	v_subrev_co_u32_e32 v8, vcc, s10, v4
	v_mov_b32_e32 v10, 0
	s_nop 0
	v_subb_co_u32_e32 v9, vcc, v5, v1, vcc
	v_or_b32_e32 v11, s13, v9
	v_cmp_ne_u64_e32 vcc, 0, v[10:11]
                                        ; implicit-def: $vgpr6_vgpr7
	s_and_saveexec_b64 s[2:3], vcc
	s_xor_b64 s[38:39], exec, s[2:3]
	s_cbranch_execz .LBB11_74
; %bb.73:
	s_ashr_i32 s40, s13, 31
	s_add_u32 s2, s12, s40
	s_mov_b32 s41, s40
	s_addc_u32 s3, s13, s40
	s_xor_b64 s[42:43], s[2:3], s[40:41]
	v_cvt_f32_u32_e32 v1, s42
	v_cvt_f32_u32_e32 v3, s43
	s_sub_u32 s20, 0, s42
	s_subb_u32 s41, 0, s43
	v_ashrrev_i32_e32 v6, 31, v9
	v_fmamk_f32 v1, v3, 0x4f800000, v1
	v_rcp_f32_e32 v1, v1
	v_mov_b32_e32 v7, v6
	v_lshl_add_u64 v[8:9], v[8:9], 0, v[6:7]
	v_mov_b32_e32 v13, v10
	v_mul_f32_e32 v1, 0x5f7ffffc, v1
	v_mul_f32_e32 v3, 0x2f800000, v1
	v_trunc_f32_e32 v3, v3
	v_fmamk_f32 v1, v3, 0xcf800000, v1
	v_cvt_u32_f32_e32 v3, v3
	v_cvt_u32_f32_e32 v1, v1
	v_readfirstlane_b32 s44, v3
	v_readfirstlane_b32 s2, v1
	s_mul_i32 s3, s20, s44
	s_mul_hi_u32 s46, s20, s2
	s_mul_i32 s45, s41, s2
	s_add_i32 s3, s46, s3
	s_add_i32 s3, s3, s45
	s_mul_i32 s47, s20, s2
	s_mul_i32 s46, s2, s3
	s_mul_hi_u32 s48, s2, s47
	s_mul_hi_u32 s45, s2, s3
	s_add_u32 s46, s48, s46
	s_addc_u32 s45, 0, s45
	s_mul_hi_u32 s49, s44, s47
	s_mul_i32 s47, s44, s47
	s_add_u32 s46, s46, s47
	s_mul_hi_u32 s48, s44, s3
	s_addc_u32 s45, s45, s49
	s_addc_u32 s46, s48, 0
	s_mul_i32 s3, s44, s3
	s_add_u32 s3, s45, s3
	s_addc_u32 s45, 0, s46
	s_add_u32 s46, s2, s3
	s_cselect_b64 s[2:3], -1, 0
	s_cmp_lg_u64 s[2:3], 0
	s_addc_u32 s44, s44, s45
	s_mul_i32 s2, s20, s44
	s_mul_hi_u32 s3, s20, s46
	s_add_i32 s2, s3, s2
	s_mul_i32 s41, s41, s46
	s_add_i32 s2, s2, s41
	s_mul_i32 s20, s20, s46
	s_mul_hi_u32 s41, s44, s20
	s_mul_i32 s45, s44, s20
	s_mul_i32 s48, s46, s2
	s_mul_hi_u32 s20, s46, s20
	s_mul_hi_u32 s47, s46, s2
	s_add_u32 s20, s20, s48
	s_addc_u32 s47, 0, s47
	s_add_u32 s20, s20, s45
	s_mul_hi_u32 s3, s44, s2
	s_addc_u32 s20, s47, s41
	s_addc_u32 s3, s3, 0
	s_mul_i32 s2, s44, s2
	s_add_u32 s2, s20, s2
	s_addc_u32 s20, 0, s3
	s_add_u32 s41, s46, s2
	s_cselect_b64 s[2:3], -1, 0
	s_cmp_lg_u64 s[2:3], 0
	s_addc_u32 s20, s44, s20
	v_xor_b32_e32 v3, v8, v6
	v_xor_b32_e32 v1, v9, v6
	v_mad_u64_u32 v[8:9], s[2:3], v3, s20, 0
	v_mul_hi_u32 v12, v3, s41
	v_lshl_add_u64 v[8:9], v[12:13], 0, v[8:9]
	v_mad_u64_u32 v[16:17], s[2:3], v1, s41, 0
	v_add_co_u32_e32 v7, vcc, v8, v16
	v_mad_u64_u32 v[12:13], s[2:3], v1, s20, 0
	s_nop 0
	v_addc_co_u32_e32 v8, vcc, v9, v17, vcc
	v_mov_b32_e32 v9, v10
	s_nop 0
	v_addc_co_u32_e32 v13, vcc, 0, v13, vcc
	v_lshl_add_u64 v[8:9], v[8:9], 0, v[12:13]
	v_mul_lo_u32 v7, s43, v8
	v_mul_lo_u32 v12, s42, v9
	v_mad_u64_u32 v[10:11], s[2:3], s42, v8, 0
	v_add3_u32 v7, v11, v12, v7
	v_sub_u32_e32 v11, v1, v7
	v_mov_b32_e32 v12, s43
	v_sub_co_u32_e32 v3, vcc, v3, v10
	s_nop 1
	v_subb_co_u32_e64 v10, s[2:3], v11, v12, vcc
	v_subrev_co_u32_e64 v11, s[2:3], s42, v3
	v_subb_co_u32_e32 v1, vcc, v1, v7, vcc
	s_nop 0
	v_subbrev_co_u32_e64 v10, s[2:3], 0, v10, s[2:3]
	v_cmp_le_u32_e64 s[2:3], s43, v10
	v_cmp_le_u32_e32 vcc, s43, v1
	s_nop 0
	v_cndmask_b32_e64 v12, 0, -1, s[2:3]
	v_cmp_le_u32_e64 s[2:3], s42, v11
	v_cndmask_b32_e64 v7, 0, -1, vcc
	v_cmp_le_u32_e32 vcc, s42, v3
	v_cndmask_b32_e64 v11, 0, -1, s[2:3]
	v_cmp_eq_u32_e64 s[2:3], s43, v10
	v_cndmask_b32_e64 v3, 0, -1, vcc
	v_cmp_eq_u32_e32 vcc, s43, v1
	v_cndmask_b32_e64 v15, v12, v11, s[2:3]
	v_lshl_add_u64 v[10:11], v[8:9], 0, 2
	v_lshl_add_u64 v[12:13], v[8:9], 0, 1
	v_cmp_ne_u32_e64 s[2:3], 0, v15
	v_cndmask_b32_e32 v1, v7, v3, vcc
	v_cmp_ne_u32_e32 vcc, 0, v1
	v_cndmask_b32_e64 v3, v12, v10, s[2:3]
	v_cndmask_b32_e64 v11, v13, v11, s[2:3]
	v_cndmask_b32_e32 v3, v8, v3, vcc
	v_xor_b32_e32 v7, s40, v6
	v_cndmask_b32_e32 v1, v9, v11, vcc
	v_xor_b32_e32 v3, v3, v7
	v_xor_b32_e32 v1, v1, v7
	v_sub_co_u32_e32 v6, vcc, v3, v7
                                        ; implicit-def: $vgpr8
	s_nop 1
	v_subb_co_u32_e32 v7, vcc, v1, v7, vcc
.LBB11_74:
	s_andn2_saveexec_b64 s[2:3], s[38:39]
	s_cbranch_execz .LBB11_76
; %bb.75:
	v_cvt_f32_u32_e32 v1, s12
	s_sub_i32 s20, 0, s12
	v_rcp_iflag_f32_e32 v1, v1
	s_nop 0
	v_mul_f32_e32 v1, 0x4f7ffffe, v1
	v_cvt_u32_f32_e32 v1, v1
	v_mul_lo_u32 v3, s20, v1
	v_mul_hi_u32 v3, v1, v3
	v_add_u32_e32 v1, v1, v3
	v_mul_hi_u32 v1, v8, v1
	v_mul_lo_u32 v3, v1, s12
	v_sub_u32_e32 v3, v8, v3
	v_add_u32_e32 v6, 1, v1
	v_subrev_u32_e32 v7, s12, v3
	v_cmp_le_u32_e32 vcc, s12, v3
	s_nop 1
	v_cndmask_b32_e32 v3, v3, v7, vcc
	v_cndmask_b32_e32 v1, v1, v6, vcc
	v_add_u32_e32 v6, 1, v1
	v_cmp_le_u32_e32 vcc, s12, v3
	v_mov_b32_e32 v7, 0
	s_nop 0
	v_cndmask_b32_e32 v6, v1, v6, vcc
.LBB11_76:
	s_or_b64 exec, exec, s[2:3]
.LBB11_77:
	s_or_b64 exec, exec, s[36:37]
	v_or_b32_e32 v9, s13, v5
	v_mov_b32_e32 v8, 0
	v_cmp_ne_u64_e32 vcc, 0, v[8:9]
                                        ; implicit-def: $vgpr10_vgpr11
	s_and_saveexec_b64 s[2:3], vcc
	s_xor_b64 s[36:37], exec, s[2:3]
	s_cbranch_execz .LBB11_79
; %bb.78:
	s_ashr_i32 s38, s13, 31
	s_add_u32 s2, s12, s38
	s_mov_b32 s39, s38
	s_addc_u32 s3, s13, s38
	s_xor_b64 s[40:41], s[2:3], s[38:39]
	v_cvt_f32_u32_e32 v1, s40
	v_cvt_f32_u32_e32 v3, s41
	s_sub_u32 s20, 0, s40
	s_subb_u32 s39, 0, s41
	v_ashrrev_i32_e32 v10, 31, v5
	v_fmamk_f32 v1, v3, 0x4f800000, v1
	v_rcp_f32_e32 v1, v1
	v_mov_b32_e32 v11, v10
	v_lshl_add_u64 v[12:13], v[4:5], 0, v[10:11]
	v_mov_b32_e32 v17, v8
	v_mul_f32_e32 v1, 0x5f7ffffc, v1
	v_mul_f32_e32 v3, 0x2f800000, v1
	v_trunc_f32_e32 v3, v3
	v_fmamk_f32 v1, v3, 0xcf800000, v1
	v_cvt_u32_f32_e32 v3, v3
	v_cvt_u32_f32_e32 v1, v1
	v_readfirstlane_b32 s42, v3
	v_readfirstlane_b32 s2, v1
	s_mul_i32 s3, s20, s42
	s_mul_hi_u32 s44, s20, s2
	s_mul_i32 s43, s39, s2
	s_add_i32 s3, s44, s3
	s_add_i32 s3, s3, s43
	s_mul_i32 s45, s20, s2
	s_mul_i32 s44, s2, s3
	s_mul_hi_u32 s46, s2, s45
	s_mul_hi_u32 s43, s2, s3
	s_add_u32 s44, s46, s44
	s_addc_u32 s43, 0, s43
	s_mul_hi_u32 s47, s42, s45
	s_mul_i32 s45, s42, s45
	s_add_u32 s44, s44, s45
	s_mul_hi_u32 s46, s42, s3
	s_addc_u32 s43, s43, s47
	s_addc_u32 s44, s46, 0
	s_mul_i32 s3, s42, s3
	s_add_u32 s3, s43, s3
	s_addc_u32 s43, 0, s44
	s_add_u32 s44, s2, s3
	s_cselect_b64 s[2:3], -1, 0
	s_cmp_lg_u64 s[2:3], 0
	s_addc_u32 s42, s42, s43
	s_mul_i32 s2, s20, s42
	s_mul_hi_u32 s3, s20, s44
	s_add_i32 s2, s3, s2
	s_mul_i32 s39, s39, s44
	s_add_i32 s2, s2, s39
	s_mul_i32 s20, s20, s44
	s_mul_hi_u32 s39, s42, s20
	s_mul_i32 s43, s42, s20
	s_mul_i32 s46, s44, s2
	s_mul_hi_u32 s20, s44, s20
	s_mul_hi_u32 s45, s44, s2
	s_add_u32 s20, s20, s46
	s_addc_u32 s45, 0, s45
	s_add_u32 s20, s20, s43
	s_mul_hi_u32 s3, s42, s2
	s_addc_u32 s20, s45, s39
	s_addc_u32 s3, s3, 0
	s_mul_i32 s2, s42, s2
	s_add_u32 s2, s20, s2
	s_addc_u32 s20, 0, s3
	s_add_u32 s39, s44, s2
	s_cselect_b64 s[2:3], -1, 0
	s_cmp_lg_u64 s[2:3], 0
	s_addc_u32 s20, s42, s20
	v_xor_b32_e32 v3, v12, v10
	v_xor_b32_e32 v1, v13, v10
	v_mad_u64_u32 v[12:13], s[2:3], v3, s20, 0
	v_mul_hi_u32 v16, v3, s39
	v_lshl_add_u64 v[12:13], v[16:17], 0, v[12:13]
	v_mad_u64_u32 v[18:19], s[2:3], v1, s39, 0
	v_add_co_u32_e32 v9, vcc, v12, v18
	v_mad_u64_u32 v[16:17], s[2:3], v1, s20, 0
	s_nop 0
	v_addc_co_u32_e32 v12, vcc, v13, v19, vcc
	v_mov_b32_e32 v13, v8
	s_nop 0
	v_addc_co_u32_e32 v17, vcc, 0, v17, vcc
	v_lshl_add_u64 v[8:9], v[12:13], 0, v[16:17]
	v_mul_lo_u32 v11, s41, v8
	v_mul_lo_u32 v15, s40, v9
	v_mad_u64_u32 v[12:13], s[2:3], s40, v8, 0
	v_add3_u32 v11, v13, v15, v11
	v_sub_u32_e32 v13, v1, v11
	v_mov_b32_e32 v15, s41
	v_sub_co_u32_e32 v3, vcc, v3, v12
	v_lshl_add_u64 v[16:17], v[8:9], 0, 1
	s_nop 0
	v_subb_co_u32_e64 v12, s[2:3], v13, v15, vcc
	v_subrev_co_u32_e64 v13, s[2:3], s40, v3
	v_subb_co_u32_e32 v1, vcc, v1, v11, vcc
	s_nop 0
	v_subbrev_co_u32_e64 v12, s[2:3], 0, v12, s[2:3]
	v_cmp_le_u32_e64 s[2:3], s41, v12
	v_cmp_le_u32_e32 vcc, s41, v1
	s_nop 0
	v_cndmask_b32_e64 v15, 0, -1, s[2:3]
	v_cmp_le_u32_e64 s[2:3], s40, v13
	v_cndmask_b32_e64 v11, 0, -1, vcc
	v_cmp_le_u32_e32 vcc, s40, v3
	v_cndmask_b32_e64 v13, 0, -1, s[2:3]
	v_cmp_eq_u32_e64 s[2:3], s41, v12
	v_cndmask_b32_e64 v3, 0, -1, vcc
	v_cmp_eq_u32_e32 vcc, s41, v1
	v_cndmask_b32_e64 v15, v15, v13, s[2:3]
	v_lshl_add_u64 v[12:13], v[8:9], 0, 2
	v_cmp_ne_u32_e64 s[2:3], 0, v15
	v_cndmask_b32_e32 v1, v11, v3, vcc
	v_cmp_ne_u32_e32 vcc, 0, v1
	v_cndmask_b32_e64 v3, v16, v12, s[2:3]
	v_cndmask_b32_e64 v13, v17, v13, s[2:3]
	v_cndmask_b32_e32 v3, v8, v3, vcc
	v_xor_b32_e32 v8, s38, v10
	v_cndmask_b32_e32 v1, v9, v13, vcc
	v_xor_b32_e32 v3, v3, v8
	v_xor_b32_e32 v1, v1, v8
	v_sub_co_u32_e32 v10, vcc, v3, v8
	s_nop 1
	v_subb_co_u32_e32 v11, vcc, v1, v8, vcc
.LBB11_79:
	s_andn2_saveexec_b64 s[2:3], s[36:37]
	s_cbranch_execz .LBB11_81
; %bb.80:
	v_cvt_f32_u32_e32 v1, s12
	s_sub_i32 s20, 0, s12
	v_mov_b32_e32 v11, 0
	v_rcp_iflag_f32_e32 v1, v1
	s_nop 0
	v_mul_f32_e32 v1, 0x4f7ffffe, v1
	v_cvt_u32_f32_e32 v1, v1
	v_mul_lo_u32 v3, s20, v1
	v_mul_hi_u32 v3, v1, v3
	v_add_u32_e32 v1, v1, v3
	v_mul_hi_u32 v1, v4, v1
	v_mul_lo_u32 v3, v1, s12
	v_sub_u32_e32 v3, v4, v3
	v_add_u32_e32 v8, 1, v1
	v_subrev_u32_e32 v9, s12, v3
	v_cmp_le_u32_e32 vcc, s12, v3
	s_nop 1
	v_cndmask_b32_e32 v3, v3, v9, vcc
	v_cndmask_b32_e32 v1, v1, v8, vcc
	v_add_u32_e32 v8, 1, v1
	v_cmp_le_u32_e32 vcc, s12, v3
	s_nop 1
	v_cndmask_b32_e32 v10, v1, v8, vcc
.LBB11_81:
	s_or_b64 exec, exec, s[2:3]
	v_mul_lo_u32 v1, v7, s12
	v_mul_lo_u32 v3, v6, s13
	v_mad_u64_u32 v[8:9], s[2:3], v6, s12, 0
	v_add3_u32 v9, v9, v3, v1
	v_cmp_gt_i64_e32 vcc, v[8:9], v[4:5]
	v_mov_b64_e32 v[8:9], s[10:11]
	v_mad_u64_u32 v[8:9], s[2:3], v6, s12, v[8:9]
	v_add3_u32 v9, v1, v9, v3
	v_cmp_ge_i64_e64 s[2:3], v[4:5], v[8:9]
	s_or_b64 s[2:3], vcc, s[2:3]
	v_mov_b32_e32 v1, s15
	v_cndmask_b32_e64 v8, 0, 1, s[2:3]
	s_mov_b32 s2, 0
	v_mov_b32_e32 v9, s2
	v_cmp_gt_i64_e32 vcc, s[14:15], v[10:11]
	v_lshl_add_u64 v[12:13], v[6:7], 0, v[8:9]
	s_nop 0
	v_cndmask_b32_e32 v7, v1, v11, vcc
	v_mov_b32_e32 v1, s14
	v_cndmask_b32_e32 v6, v1, v10, vcc
	v_cmp_le_i64_e32 vcc, v[12:13], v[6:7]
	s_and_saveexec_b64 s[2:3], vcc
	s_cbranch_execz .LBB11_84
; %bb.82:
	global_load_ushort v10, v2, s[4:5]
	v_mul_lo_u32 v11, s13, v12
	v_mul_lo_u32 v15, s12, v13
	v_mad_u64_u32 v[16:17], s[36:37], s12, v12, 0
	v_add3_u32 v11, v17, v15, v11
	v_sub_co_u32_e32 v4, vcc, v4, v16
	v_mov_b32_e32 v3, 0
	s_nop 0
	v_subb_co_u32_e32 v5, vcc, v5, v11, vcc
	v_mul_lo_u32 v11, s19, v4
	v_mul_lo_u32 v15, s18, v5
	v_mad_u64_u32 v[4:5], s[36:37], s18, v4, 0
	v_lshl_add_u64 v[8:9], s[4:5], 0, v[2:3]
	v_mov_b32_e32 v1, v3
	v_lshl_add_u64 v[2:3], v[12:13], 0, -1
	v_add3_u32 v5, v5, v15, v11
	v_mul_lo_u32 v11, s17, v12
	v_mul_lo_u32 v15, s16, v13
	v_mad_u64_u32 v[12:13], s[36:37], s16, v12, 0
	s_mul_i32 s20, s12, s19
	s_mul_hi_u32 s38, s12, s18
	v_add3_u32 v13, v13, v15, v11
	s_add_i32 s20, s38, s20
	s_mul_i32 s38, s13, s18
	v_lshlrev_b64 v[12:13], 1, v[12:13]
	s_add_i32 s39, s20, s38
	s_mul_i32 s38, s12, s18
	v_lshl_add_u64 v[4:5], v[4:5], 1, v[12:13]
	s_lshl_b64 s[36:37], s[16:17], 1
	s_lshl_b64 s[38:39], s[38:39], 1
	v_lshl_add_u64 v[0:1], v[4:5], 0, v[0:1]
	s_sub_u32 s36, s36, s38
	v_lshl_add_u64 v[0:1], s[6:7], 0, v[0:1]
	s_subb_u32 s37, s37, s39
	s_mov_b64 s[38:39], 0
	s_movk_i32 s20, 0x7fff
	v_mov_b32_e32 v4, 0x7fc0
.LBB11_83:                              ; =>This Inner Loop Header: Depth=1
	global_load_ushort v5, v[0:1], off
	s_waitcnt vmcnt(1)
	v_lshlrev_b32_e32 v10, 16, v10
	v_lshl_add_u64 v[2:3], v[2:3], 0, 1
	v_cmp_ge_i64_e32 vcc, v[2:3], v[6:7]
	s_or_b64 s[38:39], vcc, s[38:39]
	v_lshl_add_u64 v[0:1], v[0:1], 0, s[36:37]
	s_waitcnt vmcnt(0)
	v_lshlrev_b32_e32 v5, 16, v5
	v_add_f32_e32 v5, v5, v10
	v_bfe_u32 v10, v5, 16, 1
	v_cmp_o_f32_e32 vcc, v5, v5
	v_add3_u32 v5, v5, v10, s20
	s_nop 0
	v_cndmask_b32_sdwa v10, v4, v5, vcc dst_sel:DWORD dst_unused:UNUSED_PAD src0_sel:DWORD src1_sel:WORD_1
	global_store_short v[8:9], v10, off
	s_andn2_b64 exec, exec, s[38:39]
	s_cbranch_execnz .LBB11_83
.LBB11_84:
	s_or_b64 exec, exec, s[2:3]
	v_add_u32_e32 v14, 0x100, v14
	s_or_b64 exec, exec, s[66:67]
	v_cmp_gt_i32_e32 vcc, s70, v14
	s_and_saveexec_b64 s[2:3], vcc
	s_cbranch_execz .LBB11_111
.LBB11_85:
	s_and_b64 vcc, exec, s[0:1]
	s_cbranch_vccnz .LBB11_91
; %bb.86:
	v_mov_b32_e32 v4, 0
	s_andn2_b64 vcc, exec, s[64:65]
	v_mov_b32_e32 v0, 0
	v_mov_b32_e32 v2, 0
	s_cbranch_vccnz .LBB11_95
; %bb.87:
	s_add_i32 s69, s69, 1
	s_cmp_eq_u32 s68, 2
	s_cbranch_scc1 .LBB11_92
; %bb.88:
	s_and_b32 s20, s69, 28
	v_mov_b32_e32 v2, 0
	s_mov_b32 s56, 0
	v_mov_b32_e32 v6, v14
	v_mov_b32_e32 v0, 0
	;; [unrolled: 1-line block ×3, first 2 shown]
.LBB11_89:                              ; =>This Inner Loop Header: Depth=1
	s_load_dwordx8 s[36:43], s[62:63], 0x0
	s_load_dwordx4 s[0:3], s[62:63], 0x20
	s_load_dwordx4 s[52:55], s[62:63], 0xe0
	s_load_dwordx8 s[44:51], s[62:63], 0xc0
	s_add_i32 s56, s56, 4
	s_waitcnt lgkmcnt(0)
	v_mul_hi_u32 v1, s37, v6
	v_add_u32_e32 v1, v6, v1
	v_lshrrev_b32_e32 v1, s38, v1
	v_mul_hi_u32 v5, s40, v1
	v_add_u32_e32 v5, v1, v5
	v_lshrrev_b32_e32 v5, s41, v5
	v_mul_lo_u32 v3, v1, s36
	v_mul_lo_u32 v8, v5, s39
	v_mul_hi_u32 v9, s43, v5
	v_sub_u32_e32 v3, v6, v3
	v_sub_u32_e32 v1, v1, v8
	v_add_u32_e32 v8, v5, v9
	v_mul_lo_u32 v6, v3, s44
	v_mul_lo_u32 v7, v3, s46
	;; [unrolled: 1-line block ×6, first 2 shown]
	v_lshrrev_b32_e32 v8, s0, v8
	v_add3_u32 v0, v3, v0, v1
	v_add3_u32 v1, v7, v4, v10
	v_mul_hi_u32 v4, s2, v8
	v_add_u32_e32 v4, v8, v4
	v_add3_u32 v2, v6, v2, v9
	v_lshrrev_b32_e32 v6, s3, v4
	v_mul_lo_u32 v3, v8, s42
	v_mul_lo_u32 v4, v6, s1
	s_add_u32 s62, s62, 48
	v_sub_u32_e32 v3, v5, v3
	v_sub_u32_e32 v4, v8, v4
	s_addc_u32 s63, s63, 0
	v_mul_lo_u32 v5, v3, s50
	v_mul_lo_u32 v7, v3, s51
	;; [unrolled: 1-line block ×6, first 2 shown]
	s_cmp_eq_u32 s20, s56
	v_add3_u32 v2, v5, v2, v8
	v_add3_u32 v4, v3, v1, v4
	;; [unrolled: 1-line block ×3, first 2 shown]
	s_cbranch_scc0 .LBB11_89
; %bb.90:
	v_mov_b32_e32 v1, v4
	s_and_b32 s2, s69, 3
	s_cmp_eq_u32 s2, 0
	s_cbranch_scc0 .LBB11_93
	s_branch .LBB11_95
.LBB11_91:
                                        ; implicit-def: $vgpr4
                                        ; implicit-def: $vgpr0
                                        ; implicit-def: $vgpr2
	s_branch .LBB11_96
.LBB11_92:
	v_mov_b32_e32 v0, 0
	s_mov_b32 s20, 0
	v_mov_b32_e32 v1, v0
                                        ; implicit-def: $vgpr4
	v_mov_b32_e32 v6, v14
	v_mov_b32_e32 v2, v0
	s_and_b32 s2, s69, 3
	s_cmp_eq_u32 s2, 0
	s_cbranch_scc1 .LBB11_95
.LBB11_93:
	s_mul_i32 s0, s20, 12
	s_add_u32 s0, s27, s0
	s_addc_u32 s1, s33, 0
	s_add_u32 s0, s0, 4
	s_addc_u32 s1, s1, 0
.LBB11_94:                              ; =>This Inner Loop Header: Depth=1
	s_load_dwordx2 s[36:37], s[0:1], 0x0
	s_load_dword s3, s[0:1], 0x8
	s_load_dwordx2 s[38:39], s[0:1], 0xc0
	s_load_dword s20, s[0:1], 0xc8
	v_mov_b32_e32 v4, v1
	s_waitcnt lgkmcnt(0)
	v_mul_hi_u32 v1, s37, v6
	v_add_u32_e32 v1, v6, v1
	v_lshrrev_b32_e32 v1, s3, v1
	v_mul_lo_u32 v3, v1, s36
	s_add_u32 s0, s0, 12
	v_sub_u32_e32 v7, v6, v3
	s_addc_u32 s1, s1, 0
	s_add_i32 s2, s2, -1
	v_mov_b32_e32 v6, v1
	v_mad_u64_u32 v[4:5], s[36:37], v7, s20, v[4:5]
	v_mad_u64_u32 v[0:1], s[36:37], v7, s39, v[0:1]
	s_cmp_lg_u32 s2, 0
	v_mad_u64_u32 v[2:3], s[36:37], v7, s38, v[2:3]
	v_mov_b32_e32 v1, v4
	s_cbranch_scc1 .LBB11_94
.LBB11_95:
	s_cbranch_execnz .LBB11_98
.LBB11_96:
	v_mul_hi_u32 v0, s22, v14
	v_add_u32_e32 v0, v14, v0
	v_lshrrev_b32_e32 v1, s23, v0
	v_mul_lo_u32 v0, v1, s21
	v_sub_u32_e32 v0, v14, v0
	v_mul_lo_u32 v2, v0, s28
	v_mul_lo_u32 v4, v0, s30
	s_andn2_b64 vcc, exec, s[60:61]
	v_mul_lo_u32 v0, v0, s29
	s_cbranch_vccnz .LBB11_98
; %bb.97:
	v_mul_hi_u32 v3, s25, v1
	v_add_u32_e32 v3, v1, v3
	v_lshrrev_b32_e32 v3, s26, v3
	v_mul_lo_u32 v3, v3, s24
	v_sub_u32_e32 v5, v1, v3
	v_mad_u64_u32 v[2:3], s[0:1], v5, s31, v[2:3]
	v_mad_u64_u32 v[0:1], s[0:1], v5, s34, v[0:1]
	;; [unrolled: 1-line block ×3, first 2 shown]
.LBB11_98:
	global_load_dwordx2 v[4:5], v4, s[8:9]
	v_mov_b64_e32 v[6:7], 0
	s_waitcnt vmcnt(0)
	v_cmp_lt_i64_e32 vcc, s[10:11], v[4:5]
	s_and_saveexec_b64 s[2:3], vcc
	s_cbranch_execz .LBB11_104
; %bb.99:
	v_mov_b32_e32 v1, s11
	v_subrev_co_u32_e32 v8, vcc, s10, v4
	v_mov_b32_e32 v10, 0
	s_nop 0
	v_subb_co_u32_e32 v9, vcc, v5, v1, vcc
	v_or_b32_e32 v11, s13, v9
	v_cmp_ne_u64_e32 vcc, 0, v[10:11]
                                        ; implicit-def: $vgpr6_vgpr7
	s_and_saveexec_b64 s[0:1], vcc
	s_xor_b64 s[8:9], exec, s[0:1]
	s_cbranch_execz .LBB11_101
; %bb.100:
	s_ashr_i32 s20, s13, 31
	s_add_u32 s0, s12, s20
	s_mov_b32 s21, s20
	s_addc_u32 s1, s13, s20
	s_xor_b64 s[22:23], s[0:1], s[20:21]
	v_cvt_f32_u32_e32 v1, s22
	v_cvt_f32_u32_e32 v3, s23
	s_sub_u32 s21, 0, s22
	s_subb_u32 s24, 0, s23
	v_ashrrev_i32_e32 v6, 31, v9
	v_fmamk_f32 v1, v3, 0x4f800000, v1
	v_rcp_f32_e32 v1, v1
	v_mov_b32_e32 v7, v6
	v_lshl_add_u64 v[8:9], v[8:9], 0, v[6:7]
	v_mov_b32_e32 v13, v10
	v_mul_f32_e32 v1, 0x5f7ffffc, v1
	v_mul_f32_e32 v3, 0x2f800000, v1
	v_trunc_f32_e32 v3, v3
	v_fmamk_f32 v1, v3, 0xcf800000, v1
	v_cvt_u32_f32_e32 v3, v3
	v_cvt_u32_f32_e32 v1, v1
	v_readfirstlane_b32 s25, v3
	v_readfirstlane_b32 s0, v1
	s_mul_i32 s1, s21, s25
	s_mul_hi_u32 s27, s21, s0
	s_mul_i32 s26, s24, s0
	s_add_i32 s1, s27, s1
	s_add_i32 s1, s1, s26
	s_mul_i32 s28, s21, s0
	s_mul_i32 s27, s0, s1
	s_mul_hi_u32 s29, s0, s28
	s_mul_hi_u32 s26, s0, s1
	s_add_u32 s27, s29, s27
	s_addc_u32 s26, 0, s26
	s_mul_hi_u32 s30, s25, s28
	s_mul_i32 s28, s25, s28
	s_add_u32 s27, s27, s28
	s_mul_hi_u32 s29, s25, s1
	s_addc_u32 s26, s26, s30
	s_addc_u32 s27, s29, 0
	s_mul_i32 s1, s25, s1
	s_add_u32 s1, s26, s1
	s_addc_u32 s26, 0, s27
	s_add_u32 s27, s0, s1
	s_cselect_b64 s[0:1], -1, 0
	s_cmp_lg_u64 s[0:1], 0
	s_addc_u32 s25, s25, s26
	s_mul_i32 s0, s21, s25
	s_mul_hi_u32 s1, s21, s27
	s_add_i32 s0, s1, s0
	s_mul_i32 s24, s24, s27
	s_add_i32 s0, s0, s24
	s_mul_i32 s21, s21, s27
	s_mul_hi_u32 s24, s25, s21
	s_mul_i32 s26, s25, s21
	s_mul_i32 s29, s27, s0
	s_mul_hi_u32 s21, s27, s21
	s_mul_hi_u32 s28, s27, s0
	s_add_u32 s21, s21, s29
	s_addc_u32 s28, 0, s28
	s_add_u32 s21, s21, s26
	s_mul_hi_u32 s1, s25, s0
	s_addc_u32 s21, s28, s24
	s_addc_u32 s1, s1, 0
	s_mul_i32 s0, s25, s0
	s_add_u32 s0, s21, s0
	s_addc_u32 s21, 0, s1
	s_add_u32 s24, s27, s0
	s_cselect_b64 s[0:1], -1, 0
	s_cmp_lg_u64 s[0:1], 0
	s_addc_u32 s21, s25, s21
	v_xor_b32_e32 v3, v8, v6
	v_xor_b32_e32 v1, v9, v6
	v_mad_u64_u32 v[8:9], s[0:1], v3, s21, 0
	v_mul_hi_u32 v12, v3, s24
	v_lshl_add_u64 v[8:9], v[12:13], 0, v[8:9]
	v_mad_u64_u32 v[14:15], s[0:1], v1, s24, 0
	v_add_co_u32_e32 v7, vcc, v8, v14
	v_mad_u64_u32 v[12:13], s[0:1], v1, s21, 0
	s_nop 0
	v_addc_co_u32_e32 v8, vcc, v9, v15, vcc
	v_mov_b32_e32 v9, v10
	s_nop 0
	v_addc_co_u32_e32 v13, vcc, 0, v13, vcc
	v_lshl_add_u64 v[8:9], v[8:9], 0, v[12:13]
	v_mul_lo_u32 v7, s23, v8
	v_mul_lo_u32 v12, s22, v9
	v_mad_u64_u32 v[10:11], s[0:1], s22, v8, 0
	v_add3_u32 v7, v11, v12, v7
	v_sub_u32_e32 v11, v1, v7
	v_mov_b32_e32 v12, s23
	v_sub_co_u32_e32 v3, vcc, v3, v10
	s_nop 1
	v_subb_co_u32_e64 v10, s[0:1], v11, v12, vcc
	v_subrev_co_u32_e64 v11, s[0:1], s22, v3
	v_subb_co_u32_e32 v1, vcc, v1, v7, vcc
	s_nop 0
	v_subbrev_co_u32_e64 v10, s[0:1], 0, v10, s[0:1]
	v_cmp_le_u32_e64 s[0:1], s23, v10
	v_cmp_le_u32_e32 vcc, s23, v1
	s_nop 0
	v_cndmask_b32_e64 v12, 0, -1, s[0:1]
	v_cmp_le_u32_e64 s[0:1], s22, v11
	v_cndmask_b32_e64 v7, 0, -1, vcc
	v_cmp_le_u32_e32 vcc, s22, v3
	v_cndmask_b32_e64 v11, 0, -1, s[0:1]
	v_cmp_eq_u32_e64 s[0:1], s23, v10
	v_cndmask_b32_e64 v3, 0, -1, vcc
	v_cmp_eq_u32_e32 vcc, s23, v1
	v_cndmask_b32_e64 v14, v12, v11, s[0:1]
	v_lshl_add_u64 v[10:11], v[8:9], 0, 2
	v_lshl_add_u64 v[12:13], v[8:9], 0, 1
	v_cmp_ne_u32_e64 s[0:1], 0, v14
	v_cndmask_b32_e32 v1, v7, v3, vcc
	v_cmp_ne_u32_e32 vcc, 0, v1
	v_cndmask_b32_e64 v3, v12, v10, s[0:1]
	v_cndmask_b32_e64 v11, v13, v11, s[0:1]
	v_cndmask_b32_e32 v3, v8, v3, vcc
	v_xor_b32_e32 v7, s20, v6
	v_cndmask_b32_e32 v1, v9, v11, vcc
	v_xor_b32_e32 v3, v3, v7
	v_xor_b32_e32 v1, v1, v7
	v_sub_co_u32_e32 v6, vcc, v3, v7
                                        ; implicit-def: $vgpr8
	s_nop 1
	v_subb_co_u32_e32 v7, vcc, v1, v7, vcc
.LBB11_101:
	s_andn2_saveexec_b64 s[0:1], s[8:9]
	s_cbranch_execz .LBB11_103
; %bb.102:
	v_cvt_f32_u32_e32 v1, s12
	s_sub_i32 s8, 0, s12
	v_rcp_iflag_f32_e32 v1, v1
	s_nop 0
	v_mul_f32_e32 v1, 0x4f7ffffe, v1
	v_cvt_u32_f32_e32 v1, v1
	v_mul_lo_u32 v3, s8, v1
	v_mul_hi_u32 v3, v1, v3
	v_add_u32_e32 v1, v1, v3
	v_mul_hi_u32 v1, v8, v1
	v_mul_lo_u32 v3, v1, s12
	v_sub_u32_e32 v3, v8, v3
	v_add_u32_e32 v6, 1, v1
	v_subrev_u32_e32 v7, s12, v3
	v_cmp_le_u32_e32 vcc, s12, v3
	s_nop 1
	v_cndmask_b32_e32 v3, v3, v7, vcc
	v_cndmask_b32_e32 v1, v1, v6, vcc
	v_add_u32_e32 v6, 1, v1
	v_cmp_le_u32_e32 vcc, s12, v3
	v_mov_b32_e32 v7, 0
	s_nop 0
	v_cndmask_b32_e32 v6, v1, v6, vcc
.LBB11_103:
	s_or_b64 exec, exec, s[0:1]
.LBB11_104:
	s_or_b64 exec, exec, s[2:3]
	v_or_b32_e32 v9, s13, v5
	v_mov_b32_e32 v8, 0
	v_cmp_ne_u64_e32 vcc, 0, v[8:9]
                                        ; implicit-def: $vgpr10_vgpr11
	s_and_saveexec_b64 s[0:1], vcc
	s_xor_b64 s[2:3], exec, s[0:1]
	s_cbranch_execz .LBB11_106
; %bb.105:
	s_ashr_i32 s8, s13, 31
	s_add_u32 s0, s12, s8
	s_mov_b32 s9, s8
	s_addc_u32 s1, s13, s8
	s_xor_b64 s[20:21], s[0:1], s[8:9]
	v_cvt_f32_u32_e32 v1, s20
	v_cvt_f32_u32_e32 v3, s21
	s_sub_u32 s9, 0, s20
	s_subb_u32 s22, 0, s21
	v_ashrrev_i32_e32 v10, 31, v5
	v_fmamk_f32 v1, v3, 0x4f800000, v1
	v_rcp_f32_e32 v1, v1
	v_mov_b32_e32 v11, v10
	v_lshl_add_u64 v[12:13], v[4:5], 0, v[10:11]
	v_mov_b32_e32 v15, v8
	v_mul_f32_e32 v1, 0x5f7ffffc, v1
	v_mul_f32_e32 v3, 0x2f800000, v1
	v_trunc_f32_e32 v3, v3
	v_fmamk_f32 v1, v3, 0xcf800000, v1
	v_cvt_u32_f32_e32 v3, v3
	v_cvt_u32_f32_e32 v1, v1
	v_readfirstlane_b32 s23, v3
	v_readfirstlane_b32 s0, v1
	s_mul_i32 s1, s9, s23
	s_mul_hi_u32 s25, s9, s0
	s_mul_i32 s24, s22, s0
	s_add_i32 s1, s25, s1
	s_add_i32 s1, s1, s24
	s_mul_i32 s26, s9, s0
	s_mul_i32 s25, s0, s1
	s_mul_hi_u32 s27, s0, s26
	s_mul_hi_u32 s24, s0, s1
	s_add_u32 s25, s27, s25
	s_addc_u32 s24, 0, s24
	s_mul_hi_u32 s28, s23, s26
	s_mul_i32 s26, s23, s26
	s_add_u32 s25, s25, s26
	s_mul_hi_u32 s27, s23, s1
	s_addc_u32 s24, s24, s28
	s_addc_u32 s25, s27, 0
	s_mul_i32 s1, s23, s1
	s_add_u32 s1, s24, s1
	s_addc_u32 s24, 0, s25
	s_add_u32 s25, s0, s1
	s_cselect_b64 s[0:1], -1, 0
	s_cmp_lg_u64 s[0:1], 0
	s_addc_u32 s23, s23, s24
	s_mul_i32 s0, s9, s23
	s_mul_hi_u32 s1, s9, s25
	s_add_i32 s0, s1, s0
	s_mul_i32 s22, s22, s25
	s_add_i32 s0, s0, s22
	s_mul_i32 s9, s9, s25
	s_mul_hi_u32 s22, s23, s9
	s_mul_i32 s24, s23, s9
	s_mul_i32 s27, s25, s0
	s_mul_hi_u32 s9, s25, s9
	s_mul_hi_u32 s26, s25, s0
	s_add_u32 s9, s9, s27
	s_addc_u32 s26, 0, s26
	s_add_u32 s9, s9, s24
	s_mul_hi_u32 s1, s23, s0
	s_addc_u32 s9, s26, s22
	s_addc_u32 s1, s1, 0
	s_mul_i32 s0, s23, s0
	s_add_u32 s0, s9, s0
	s_addc_u32 s9, 0, s1
	s_add_u32 s22, s25, s0
	s_cselect_b64 s[0:1], -1, 0
	s_cmp_lg_u64 s[0:1], 0
	s_addc_u32 s9, s23, s9
	v_xor_b32_e32 v3, v12, v10
	v_xor_b32_e32 v1, v13, v10
	v_mad_u64_u32 v[12:13], s[0:1], v3, s9, 0
	v_mul_hi_u32 v14, v3, s22
	v_lshl_add_u64 v[12:13], v[14:15], 0, v[12:13]
	v_mad_u64_u32 v[16:17], s[0:1], v1, s22, 0
	v_add_co_u32_e32 v9, vcc, v12, v16
	v_mad_u64_u32 v[14:15], s[0:1], v1, s9, 0
	s_nop 0
	v_addc_co_u32_e32 v12, vcc, v13, v17, vcc
	v_mov_b32_e32 v13, v8
	s_nop 0
	v_addc_co_u32_e32 v15, vcc, 0, v15, vcc
	v_lshl_add_u64 v[8:9], v[12:13], 0, v[14:15]
	v_mul_lo_u32 v11, s21, v8
	v_mul_lo_u32 v14, s20, v9
	v_mad_u64_u32 v[12:13], s[0:1], s20, v8, 0
	v_add3_u32 v11, v13, v14, v11
	v_sub_u32_e32 v13, v1, v11
	v_mov_b32_e32 v14, s21
	v_sub_co_u32_e32 v3, vcc, v3, v12
	s_nop 1
	v_subb_co_u32_e64 v12, s[0:1], v13, v14, vcc
	v_subrev_co_u32_e64 v13, s[0:1], s20, v3
	v_subb_co_u32_e32 v1, vcc, v1, v11, vcc
	s_nop 0
	v_subbrev_co_u32_e64 v12, s[0:1], 0, v12, s[0:1]
	v_cmp_le_u32_e64 s[0:1], s21, v12
	v_cmp_le_u32_e32 vcc, s21, v1
	s_nop 0
	v_cndmask_b32_e64 v14, 0, -1, s[0:1]
	v_cmp_le_u32_e64 s[0:1], s20, v13
	v_cndmask_b32_e64 v11, 0, -1, vcc
	v_cmp_le_u32_e32 vcc, s20, v3
	v_cndmask_b32_e64 v13, 0, -1, s[0:1]
	v_cmp_eq_u32_e64 s[0:1], s21, v12
	v_cndmask_b32_e64 v3, 0, -1, vcc
	v_cmp_eq_u32_e32 vcc, s21, v1
	v_cndmask_b32_e64 v16, v14, v13, s[0:1]
	v_lshl_add_u64 v[12:13], v[8:9], 0, 2
	v_lshl_add_u64 v[14:15], v[8:9], 0, 1
	v_cmp_ne_u32_e64 s[0:1], 0, v16
	v_cndmask_b32_e32 v1, v11, v3, vcc
	v_cmp_ne_u32_e32 vcc, 0, v1
	v_cndmask_b32_e64 v3, v14, v12, s[0:1]
	v_cndmask_b32_e64 v13, v15, v13, s[0:1]
	v_cndmask_b32_e32 v3, v8, v3, vcc
	v_xor_b32_e32 v8, s8, v10
	v_cndmask_b32_e32 v1, v9, v13, vcc
	v_xor_b32_e32 v3, v3, v8
	v_xor_b32_e32 v1, v1, v8
	v_sub_co_u32_e32 v10, vcc, v3, v8
	s_nop 1
	v_subb_co_u32_e32 v11, vcc, v1, v8, vcc
.LBB11_106:
	s_andn2_saveexec_b64 s[0:1], s[2:3]
	s_cbranch_execz .LBB11_108
; %bb.107:
	v_cvt_f32_u32_e32 v1, s12
	s_sub_i32 s2, 0, s12
	v_mov_b32_e32 v11, 0
	v_rcp_iflag_f32_e32 v1, v1
	s_nop 0
	v_mul_f32_e32 v1, 0x4f7ffffe, v1
	v_cvt_u32_f32_e32 v1, v1
	v_mul_lo_u32 v3, s2, v1
	v_mul_hi_u32 v3, v1, v3
	v_add_u32_e32 v1, v1, v3
	v_mul_hi_u32 v1, v4, v1
	v_mul_lo_u32 v3, v1, s12
	v_sub_u32_e32 v3, v4, v3
	v_add_u32_e32 v8, 1, v1
	v_subrev_u32_e32 v9, s12, v3
	v_cmp_le_u32_e32 vcc, s12, v3
	s_nop 1
	v_cndmask_b32_e32 v3, v3, v9, vcc
	v_cndmask_b32_e32 v1, v1, v8, vcc
	v_add_u32_e32 v8, 1, v1
	v_cmp_le_u32_e32 vcc, s12, v3
	s_nop 1
	v_cndmask_b32_e32 v10, v1, v8, vcc
.LBB11_108:
	s_or_b64 exec, exec, s[0:1]
	v_mul_lo_u32 v1, v7, s12
	v_mul_lo_u32 v3, v6, s13
	v_mad_u64_u32 v[8:9], s[0:1], v6, s12, 0
	v_add3_u32 v9, v9, v3, v1
	v_cmp_gt_i64_e32 vcc, v[8:9], v[4:5]
	v_mov_b64_e32 v[8:9], s[10:11]
	v_mad_u64_u32 v[8:9], s[0:1], v6, s12, v[8:9]
	v_add3_u32 v9, v1, v9, v3
	v_cmp_ge_i64_e64 s[0:1], v[4:5], v[8:9]
	s_or_b64 s[0:1], vcc, s[0:1]
	v_mov_b32_e32 v1, s15
	v_cndmask_b32_e64 v8, 0, 1, s[0:1]
	s_mov_b32 s0, 0
	v_mov_b32_e32 v9, s0
	v_cmp_gt_i64_e32 vcc, s[14:15], v[10:11]
	v_lshl_add_u64 v[12:13], v[6:7], 0, v[8:9]
	s_nop 0
	v_cndmask_b32_e32 v7, v1, v11, vcc
	v_mov_b32_e32 v1, s14
	v_cndmask_b32_e32 v6, v1, v10, vcc
	v_cmp_le_i64_e32 vcc, v[12:13], v[6:7]
	s_and_b64 exec, exec, vcc
	s_cbranch_execz .LBB11_111
; %bb.109:
	global_load_ushort v10, v2, s[4:5]
	v_mul_lo_u32 v11, s13, v12
	v_mul_lo_u32 v16, s12, v13
	v_mad_u64_u32 v[14:15], s[0:1], s12, v12, 0
	v_add3_u32 v11, v15, v16, v11
	v_sub_co_u32_e32 v4, vcc, v4, v14
	v_mov_b32_e32 v3, 0
	s_nop 0
	v_subb_co_u32_e32 v5, vcc, v5, v11, vcc
	v_mul_lo_u32 v11, s19, v4
	v_mul_lo_u32 v14, s18, v5
	v_mad_u64_u32 v[4:5], s[0:1], s18, v4, 0
	v_lshl_add_u64 v[8:9], s[4:5], 0, v[2:3]
	v_mov_b32_e32 v1, v3
	v_lshl_add_u64 v[2:3], v[12:13], 0, -1
	v_add3_u32 v5, v5, v14, v11
	v_mul_lo_u32 v11, s17, v12
	v_mul_lo_u32 v14, s16, v13
	v_mad_u64_u32 v[12:13], s[0:1], s16, v12, 0
	s_mul_i32 s2, s12, s19
	s_mul_hi_u32 s3, s12, s18
	v_add3_u32 v13, v13, v14, v11
	s_add_i32 s2, s3, s2
	s_mul_i32 s3, s13, s18
	v_lshlrev_b64 v[12:13], 1, v[12:13]
	s_add_i32 s3, s2, s3
	s_mul_i32 s2, s12, s18
	v_lshl_add_u64 v[4:5], v[4:5], 1, v[12:13]
	s_lshl_b64 s[0:1], s[16:17], 1
	s_lshl_b64 s[2:3], s[2:3], 1
	v_lshl_add_u64 v[0:1], v[4:5], 0, v[0:1]
	s_sub_u32 s0, s0, s2
	v_lshl_add_u64 v[0:1], s[6:7], 0, v[0:1]
	s_subb_u32 s1, s1, s3
	s_mov_b64 s[2:3], 0
	s_movk_i32 s4, 0x7fff
	v_mov_b32_e32 v4, 0x7fc0
.LBB11_110:                             ; =>This Inner Loop Header: Depth=1
	global_load_ushort v5, v[0:1], off
	s_waitcnt vmcnt(1)
	v_lshlrev_b32_e32 v10, 16, v10
	v_lshl_add_u64 v[2:3], v[2:3], 0, 1
	v_cmp_ge_i64_e32 vcc, v[2:3], v[6:7]
	s_or_b64 s[2:3], vcc, s[2:3]
	v_lshl_add_u64 v[0:1], v[0:1], 0, s[0:1]
	s_waitcnt vmcnt(0)
	v_lshlrev_b32_e32 v5, 16, v5
	v_add_f32_e32 v5, v5, v10
	v_bfe_u32 v10, v5, 16, 1
	v_cmp_o_f32_e32 vcc, v5, v5
	v_add3_u32 v5, v5, v10, s4
	s_nop 0
	v_cndmask_b32_sdwa v10, v4, v5, vcc dst_sel:DWORD dst_unused:UNUSED_PAD src0_sel:DWORD src1_sel:WORD_1
	global_store_short v[8:9], v10, off
	s_andn2_b64 exec, exec, s[2:3]
	s_cbranch_execnz .LBB11_110
.LBB11_111:
	s_endpgm
	.section	.rodata,"a",@progbits
	.p2align	6, 0x0
	.amdhsa_kernel _ZN2at6native12_GLOBAL__N_135_unfold_backward_elementwise_kernelILi256ELi4EZNS1_32_unfold_backward_internal_kernelIN3c108BFloat16EEEvRNS_14TensorIteratorEllllllEUliE_EEviT1_
		.amdhsa_group_segment_fixed_size 0
		.amdhsa_private_segment_fixed_size 0
		.amdhsa_kernarg_size 464
		.amdhsa_user_sgpr_count 2
		.amdhsa_user_sgpr_dispatch_ptr 0
		.amdhsa_user_sgpr_queue_ptr 0
		.amdhsa_user_sgpr_kernarg_segment_ptr 1
		.amdhsa_user_sgpr_dispatch_id 0
		.amdhsa_user_sgpr_kernarg_preload_length 0
		.amdhsa_user_sgpr_kernarg_preload_offset 0
		.amdhsa_user_sgpr_private_segment_size 0
		.amdhsa_uses_dynamic_stack 0
		.amdhsa_enable_private_segment 0
		.amdhsa_system_sgpr_workgroup_id_x 1
		.amdhsa_system_sgpr_workgroup_id_y 0
		.amdhsa_system_sgpr_workgroup_id_z 0
		.amdhsa_system_sgpr_workgroup_info 0
		.amdhsa_system_vgpr_workitem_id 0
		.amdhsa_next_free_vgpr 20
		.amdhsa_next_free_sgpr 73
		.amdhsa_accum_offset 20
		.amdhsa_reserve_vcc 1
		.amdhsa_float_round_mode_32 0
		.amdhsa_float_round_mode_16_64 0
		.amdhsa_float_denorm_mode_32 3
		.amdhsa_float_denorm_mode_16_64 3
		.amdhsa_dx10_clamp 1
		.amdhsa_ieee_mode 1
		.amdhsa_fp16_overflow 0
		.amdhsa_tg_split 0
		.amdhsa_exception_fp_ieee_invalid_op 0
		.amdhsa_exception_fp_denorm_src 0
		.amdhsa_exception_fp_ieee_div_zero 0
		.amdhsa_exception_fp_ieee_overflow 0
		.amdhsa_exception_fp_ieee_underflow 0
		.amdhsa_exception_fp_ieee_inexact 0
		.amdhsa_exception_int_div_zero 0
	.end_amdhsa_kernel
	.section	.text._ZN2at6native12_GLOBAL__N_135_unfold_backward_elementwise_kernelILi256ELi4EZNS1_32_unfold_backward_internal_kernelIN3c108BFloat16EEEvRNS_14TensorIteratorEllllllEUliE_EEviT1_,"axG",@progbits,_ZN2at6native12_GLOBAL__N_135_unfold_backward_elementwise_kernelILi256ELi4EZNS1_32_unfold_backward_internal_kernelIN3c108BFloat16EEEvRNS_14TensorIteratorEllllllEUliE_EEviT1_,comdat
.Lfunc_end11:
	.size	_ZN2at6native12_GLOBAL__N_135_unfold_backward_elementwise_kernelILi256ELi4EZNS1_32_unfold_backward_internal_kernelIN3c108BFloat16EEEvRNS_14TensorIteratorEllllllEUliE_EEviT1_, .Lfunc_end11-_ZN2at6native12_GLOBAL__N_135_unfold_backward_elementwise_kernelILi256ELi4EZNS1_32_unfold_backward_internal_kernelIN3c108BFloat16EEEvRNS_14TensorIteratorEllllllEUliE_EEviT1_
                                        ; -- End function
	.set _ZN2at6native12_GLOBAL__N_135_unfold_backward_elementwise_kernelILi256ELi4EZNS1_32_unfold_backward_internal_kernelIN3c108BFloat16EEEvRNS_14TensorIteratorEllllllEUliE_EEviT1_.num_vgpr, 20
	.set _ZN2at6native12_GLOBAL__N_135_unfold_backward_elementwise_kernelILi256ELi4EZNS1_32_unfold_backward_internal_kernelIN3c108BFloat16EEEvRNS_14TensorIteratorEllllllEUliE_EEviT1_.num_agpr, 0
	.set _ZN2at6native12_GLOBAL__N_135_unfold_backward_elementwise_kernelILi256ELi4EZNS1_32_unfold_backward_internal_kernelIN3c108BFloat16EEEvRNS_14TensorIteratorEllllllEUliE_EEviT1_.numbered_sgpr, 73
	.set _ZN2at6native12_GLOBAL__N_135_unfold_backward_elementwise_kernelILi256ELi4EZNS1_32_unfold_backward_internal_kernelIN3c108BFloat16EEEvRNS_14TensorIteratorEllllllEUliE_EEviT1_.num_named_barrier, 0
	.set _ZN2at6native12_GLOBAL__N_135_unfold_backward_elementwise_kernelILi256ELi4EZNS1_32_unfold_backward_internal_kernelIN3c108BFloat16EEEvRNS_14TensorIteratorEllllllEUliE_EEviT1_.private_seg_size, 0
	.set _ZN2at6native12_GLOBAL__N_135_unfold_backward_elementwise_kernelILi256ELi4EZNS1_32_unfold_backward_internal_kernelIN3c108BFloat16EEEvRNS_14TensorIteratorEllllllEUliE_EEviT1_.uses_vcc, 1
	.set _ZN2at6native12_GLOBAL__N_135_unfold_backward_elementwise_kernelILi256ELi4EZNS1_32_unfold_backward_internal_kernelIN3c108BFloat16EEEvRNS_14TensorIteratorEllllllEUliE_EEviT1_.uses_flat_scratch, 0
	.set _ZN2at6native12_GLOBAL__N_135_unfold_backward_elementwise_kernelILi256ELi4EZNS1_32_unfold_backward_internal_kernelIN3c108BFloat16EEEvRNS_14TensorIteratorEllllllEUliE_EEviT1_.has_dyn_sized_stack, 0
	.set _ZN2at6native12_GLOBAL__N_135_unfold_backward_elementwise_kernelILi256ELi4EZNS1_32_unfold_backward_internal_kernelIN3c108BFloat16EEEvRNS_14TensorIteratorEllllllEUliE_EEviT1_.has_recursion, 0
	.set _ZN2at6native12_GLOBAL__N_135_unfold_backward_elementwise_kernelILi256ELi4EZNS1_32_unfold_backward_internal_kernelIN3c108BFloat16EEEvRNS_14TensorIteratorEllllllEUliE_EEviT1_.has_indirect_call, 0
	.section	.AMDGPU.csdata,"",@progbits
; Kernel info:
; codeLenInByte = 11252
; TotalNumSgprs: 79
; NumVgprs: 20
; NumAgprs: 0
; TotalNumVgprs: 20
; ScratchSize: 0
; MemoryBound: 0
; FloatMode: 240
; IeeeMode: 1
; LDSByteSize: 0 bytes/workgroup (compile time only)
; SGPRBlocks: 9
; VGPRBlocks: 2
; NumSGPRsForWavesPerEU: 79
; NumVGPRsForWavesPerEU: 20
; AccumOffset: 20
; Occupancy: 8
; WaveLimiterHint : 1
; COMPUTE_PGM_RSRC2:SCRATCH_EN: 0
; COMPUTE_PGM_RSRC2:USER_SGPR: 2
; COMPUTE_PGM_RSRC2:TRAP_HANDLER: 0
; COMPUTE_PGM_RSRC2:TGID_X_EN: 1
; COMPUTE_PGM_RSRC2:TGID_Y_EN: 0
; COMPUTE_PGM_RSRC2:TGID_Z_EN: 0
; COMPUTE_PGM_RSRC2:TIDIG_COMP_CNT: 0
; COMPUTE_PGM_RSRC3_GFX90A:ACCUM_OFFSET: 4
; COMPUTE_PGM_RSRC3_GFX90A:TG_SPLIT: 0
	.section	.AMDGPU.gpr_maximums,"",@progbits
	.set amdgpu.max_num_vgpr, 0
	.set amdgpu.max_num_agpr, 0
	.set amdgpu.max_num_sgpr, 0
	.section	.AMDGPU.csdata,"",@progbits
	.type	__hip_cuid_3421afa4c5ca2ed6,@object ; @__hip_cuid_3421afa4c5ca2ed6
	.section	.bss,"aw",@nobits
	.globl	__hip_cuid_3421afa4c5ca2ed6
__hip_cuid_3421afa4c5ca2ed6:
	.byte	0                               ; 0x0
	.size	__hip_cuid_3421afa4c5ca2ed6, 1

	.ident	"AMD clang version 22.0.0git (https://github.com/RadeonOpenCompute/llvm-project roc-7.2.4 26084 f58b06dce1f9c15707c5f808fd002e18c2accf7e)"
	.section	".note.GNU-stack","",@progbits
	.addrsig
	.addrsig_sym __hip_cuid_3421afa4c5ca2ed6
	.amdgpu_metadata
---
amdhsa.kernels:
  - .agpr_count:     0
    .args:
      - .offset:         0
        .size:           4
        .value_kind:     by_value
      - .offset:         8
        .size:           456
        .value_kind:     by_value
    .group_segment_fixed_size: 0
    .kernarg_segment_align: 8
    .kernarg_segment_size: 464
    .language:       OpenCL C
    .language_version:
      - 2
      - 0
    .max_flat_workgroup_size: 256
    .name:           _ZN2at6native12_GLOBAL__N_135_unfold_backward_elementwise_kernelILi256ELi4EZNS1_32_unfold_backward_internal_kernelIhEEvRNS_14TensorIteratorEllllllEUliE_EEviT1_
    .private_segment_fixed_size: 0
    .sgpr_count:     79
    .sgpr_spill_count: 0
    .symbol:         _ZN2at6native12_GLOBAL__N_135_unfold_backward_elementwise_kernelILi256ELi4EZNS1_32_unfold_backward_internal_kernelIhEEvRNS_14TensorIteratorEllllllEUliE_EEviT1_.kd
    .uniform_work_group_size: 1
    .uses_dynamic_stack: false
    .vgpr_count:     20
    .vgpr_spill_count: 0
    .wavefront_size: 64
  - .agpr_count:     0
    .args:
      - .offset:         0
        .size:           4
        .value_kind:     by_value
      - .offset:         8
        .size:           456
        .value_kind:     by_value
    .group_segment_fixed_size: 0
    .kernarg_segment_align: 8
    .kernarg_segment_size: 464
    .language:       OpenCL C
    .language_version:
      - 2
      - 0
    .max_flat_workgroup_size: 256
    .name:           _ZN2at6native12_GLOBAL__N_135_unfold_backward_elementwise_kernelILi256ELi4EZNS1_32_unfold_backward_internal_kernelIaEEvRNS_14TensorIteratorEllllllEUliE_EEviT1_
    .private_segment_fixed_size: 0
    .sgpr_count:     79
    .sgpr_spill_count: 0
    .symbol:         _ZN2at6native12_GLOBAL__N_135_unfold_backward_elementwise_kernelILi256ELi4EZNS1_32_unfold_backward_internal_kernelIaEEvRNS_14TensorIteratorEllllllEUliE_EEviT1_.kd
    .uniform_work_group_size: 1
    .uses_dynamic_stack: false
    .vgpr_count:     20
    .vgpr_spill_count: 0
    .wavefront_size: 64
  - .agpr_count:     0
    .args:
      - .offset:         0
        .size:           4
        .value_kind:     by_value
      - .offset:         8
        .size:           456
        .value_kind:     by_value
    .group_segment_fixed_size: 0
    .kernarg_segment_align: 8
    .kernarg_segment_size: 464
    .language:       OpenCL C
    .language_version:
      - 2
      - 0
    .max_flat_workgroup_size: 256
    .name:           _ZN2at6native12_GLOBAL__N_135_unfold_backward_elementwise_kernelILi256ELi4EZNS1_32_unfold_backward_internal_kernelIiEEvRNS_14TensorIteratorEllllllEUliE_EEviT1_
    .private_segment_fixed_size: 0
    .sgpr_count:     79
    .sgpr_spill_count: 0
    .symbol:         _ZN2at6native12_GLOBAL__N_135_unfold_backward_elementwise_kernelILi256ELi4EZNS1_32_unfold_backward_internal_kernelIiEEvRNS_14TensorIteratorEllllllEUliE_EEviT1_.kd
    .uniform_work_group_size: 1
    .uses_dynamic_stack: false
    .vgpr_count:     20
    .vgpr_spill_count: 0
    .wavefront_size: 64
  - .agpr_count:     0
    .args:
      - .offset:         0
        .size:           4
        .value_kind:     by_value
      - .offset:         8
        .size:           456
        .value_kind:     by_value
    .group_segment_fixed_size: 0
    .kernarg_segment_align: 8
    .kernarg_segment_size: 464
    .language:       OpenCL C
    .language_version:
      - 2
      - 0
    .max_flat_workgroup_size: 256
    .name:           _ZN2at6native12_GLOBAL__N_135_unfold_backward_elementwise_kernelILi256ELi4EZNS1_32_unfold_backward_internal_kernelIlEEvRNS_14TensorIteratorEllllllEUliE_EEviT1_
    .private_segment_fixed_size: 0
    .sgpr_count:     79
    .sgpr_spill_count: 0
    .symbol:         _ZN2at6native12_GLOBAL__N_135_unfold_backward_elementwise_kernelILi256ELi4EZNS1_32_unfold_backward_internal_kernelIlEEvRNS_14TensorIteratorEllllllEUliE_EEviT1_.kd
    .uniform_work_group_size: 1
    .uses_dynamic_stack: false
    .vgpr_count:     20
    .vgpr_spill_count: 0
    .wavefront_size: 64
  - .agpr_count:     0
    .args:
      - .offset:         0
        .size:           4
        .value_kind:     by_value
      - .offset:         8
        .size:           456
        .value_kind:     by_value
    .group_segment_fixed_size: 0
    .kernarg_segment_align: 8
    .kernarg_segment_size: 464
    .language:       OpenCL C
    .language_version:
      - 2
      - 0
    .max_flat_workgroup_size: 256
    .name:           _ZN2at6native12_GLOBAL__N_135_unfold_backward_elementwise_kernelILi256ELi4EZNS1_32_unfold_backward_internal_kernelIsEEvRNS_14TensorIteratorEllllllEUliE_EEviT1_
    .private_segment_fixed_size: 0
    .sgpr_count:     79
    .sgpr_spill_count: 0
    .symbol:         _ZN2at6native12_GLOBAL__N_135_unfold_backward_elementwise_kernelILi256ELi4EZNS1_32_unfold_backward_internal_kernelIsEEvRNS_14TensorIteratorEllllllEUliE_EEviT1_.kd
    .uniform_work_group_size: 1
    .uses_dynamic_stack: false
    .vgpr_count:     20
    .vgpr_spill_count: 0
    .wavefront_size: 64
  - .agpr_count:     0
    .args:
      - .offset:         0
        .size:           4
        .value_kind:     by_value
      - .offset:         8
        .size:           456
        .value_kind:     by_value
    .group_segment_fixed_size: 0
    .kernarg_segment_align: 8
    .kernarg_segment_size: 464
    .language:       OpenCL C
    .language_version:
      - 2
      - 0
    .max_flat_workgroup_size: 256
    .name:           _ZN2at6native12_GLOBAL__N_135_unfold_backward_elementwise_kernelILi256ELi4EZNS1_32_unfold_backward_internal_kernelIdEEvRNS_14TensorIteratorEllllllEUliE_EEviT1_
    .private_segment_fixed_size: 0
    .sgpr_count:     79
    .sgpr_spill_count: 0
    .symbol:         _ZN2at6native12_GLOBAL__N_135_unfold_backward_elementwise_kernelILi256ELi4EZNS1_32_unfold_backward_internal_kernelIdEEvRNS_14TensorIteratorEllllllEUliE_EEviT1_.kd
    .uniform_work_group_size: 1
    .uses_dynamic_stack: false
    .vgpr_count:     20
    .vgpr_spill_count: 0
    .wavefront_size: 64
  - .agpr_count:     0
    .args:
      - .offset:         0
        .size:           4
        .value_kind:     by_value
      - .offset:         8
        .size:           456
        .value_kind:     by_value
    .group_segment_fixed_size: 0
    .kernarg_segment_align: 8
    .kernarg_segment_size: 464
    .language:       OpenCL C
    .language_version:
      - 2
      - 0
    .max_flat_workgroup_size: 256
    .name:           _ZN2at6native12_GLOBAL__N_135_unfold_backward_elementwise_kernelILi256ELi4EZNS1_32_unfold_backward_internal_kernelIfEEvRNS_14TensorIteratorEllllllEUliE_EEviT1_
    .private_segment_fixed_size: 0
    .sgpr_count:     79
    .sgpr_spill_count: 0
    .symbol:         _ZN2at6native12_GLOBAL__N_135_unfold_backward_elementwise_kernelILi256ELi4EZNS1_32_unfold_backward_internal_kernelIfEEvRNS_14TensorIteratorEllllllEUliE_EEviT1_.kd
    .uniform_work_group_size: 1
    .uses_dynamic_stack: false
    .vgpr_count:     20
    .vgpr_spill_count: 0
    .wavefront_size: 64
  - .agpr_count:     0
    .args:
      - .offset:         0
        .size:           4
        .value_kind:     by_value
      - .offset:         8
        .size:           456
        .value_kind:     by_value
    .group_segment_fixed_size: 0
    .kernarg_segment_align: 8
    .kernarg_segment_size: 464
    .language:       OpenCL C
    .language_version:
      - 2
      - 0
    .max_flat_workgroup_size: 256
    .name:           _ZN2at6native12_GLOBAL__N_135_unfold_backward_elementwise_kernelILi256ELi4EZNS1_32_unfold_backward_internal_kernelIN3c107complexIdEEEEvRNS_14TensorIteratorEllllllEUliE_EEviT1_
    .private_segment_fixed_size: 0
    .sgpr_count:     79
    .sgpr_spill_count: 0
    .symbol:         _ZN2at6native12_GLOBAL__N_135_unfold_backward_elementwise_kernelILi256ELi4EZNS1_32_unfold_backward_internal_kernelIN3c107complexIdEEEEvRNS_14TensorIteratorEllllllEUliE_EEviT1_.kd
    .uniform_work_group_size: 1
    .uses_dynamic_stack: false
    .vgpr_count:     22
    .vgpr_spill_count: 0
    .wavefront_size: 64
  - .agpr_count:     0
    .args:
      - .offset:         0
        .size:           4
        .value_kind:     by_value
      - .offset:         8
        .size:           456
        .value_kind:     by_value
    .group_segment_fixed_size: 0
    .kernarg_segment_align: 8
    .kernarg_segment_size: 464
    .language:       OpenCL C
    .language_version:
      - 2
      - 0
    .max_flat_workgroup_size: 256
    .name:           _ZN2at6native12_GLOBAL__N_135_unfold_backward_elementwise_kernelILi256ELi4EZNS1_32_unfold_backward_internal_kernelIN3c107complexIfEEEEvRNS_14TensorIteratorEllllllEUliE_EEviT1_
    .private_segment_fixed_size: 0
    .sgpr_count:     79
    .sgpr_spill_count: 0
    .symbol:         _ZN2at6native12_GLOBAL__N_135_unfold_backward_elementwise_kernelILi256ELi4EZNS1_32_unfold_backward_internal_kernelIN3c107complexIfEEEEvRNS_14TensorIteratorEllllllEUliE_EEviT1_.kd
    .uniform_work_group_size: 1
    .uses_dynamic_stack: false
    .vgpr_count:     20
    .vgpr_spill_count: 0
    .wavefront_size: 64
  - .agpr_count:     0
    .args:
      - .offset:         0
        .size:           4
        .value_kind:     by_value
      - .offset:         8
        .size:           456
        .value_kind:     by_value
    .group_segment_fixed_size: 0
    .kernarg_segment_align: 8
    .kernarg_segment_size: 464
    .language:       OpenCL C
    .language_version:
      - 2
      - 0
    .max_flat_workgroup_size: 256
    .name:           _ZN2at6native12_GLOBAL__N_135_unfold_backward_elementwise_kernelILi256ELi4EZNS1_32_unfold_backward_internal_kernelIN3c104HalfEEEvRNS_14TensorIteratorEllllllEUliE_EEviT1_
    .private_segment_fixed_size: 0
    .sgpr_count:     79
    .sgpr_spill_count: 0
    .symbol:         _ZN2at6native12_GLOBAL__N_135_unfold_backward_elementwise_kernelILi256ELi4EZNS1_32_unfold_backward_internal_kernelIN3c104HalfEEEvRNS_14TensorIteratorEllllllEUliE_EEviT1_.kd
    .uniform_work_group_size: 1
    .uses_dynamic_stack: false
    .vgpr_count:     20
    .vgpr_spill_count: 0
    .wavefront_size: 64
  - .agpr_count:     0
    .args:
      - .offset:         0
        .size:           4
        .value_kind:     by_value
      - .offset:         8
        .size:           456
        .value_kind:     by_value
    .group_segment_fixed_size: 0
    .kernarg_segment_align: 8
    .kernarg_segment_size: 464
    .language:       OpenCL C
    .language_version:
      - 2
      - 0
    .max_flat_workgroup_size: 256
    .name:           _ZN2at6native12_GLOBAL__N_135_unfold_backward_elementwise_kernelILi256ELi4EZNS1_32_unfold_backward_internal_kernelIbEEvRNS_14TensorIteratorEllllllEUliE_EEviT1_
    .private_segment_fixed_size: 0
    .sgpr_count:     79
    .sgpr_spill_count: 0
    .symbol:         _ZN2at6native12_GLOBAL__N_135_unfold_backward_elementwise_kernelILi256ELi4EZNS1_32_unfold_backward_internal_kernelIbEEvRNS_14TensorIteratorEllllllEUliE_EEviT1_.kd
    .uniform_work_group_size: 1
    .uses_dynamic_stack: false
    .vgpr_count:     20
    .vgpr_spill_count: 0
    .wavefront_size: 64
  - .agpr_count:     0
    .args:
      - .offset:         0
        .size:           4
        .value_kind:     by_value
      - .offset:         8
        .size:           456
        .value_kind:     by_value
    .group_segment_fixed_size: 0
    .kernarg_segment_align: 8
    .kernarg_segment_size: 464
    .language:       OpenCL C
    .language_version:
      - 2
      - 0
    .max_flat_workgroup_size: 256
    .name:           _ZN2at6native12_GLOBAL__N_135_unfold_backward_elementwise_kernelILi256ELi4EZNS1_32_unfold_backward_internal_kernelIN3c108BFloat16EEEvRNS_14TensorIteratorEllllllEUliE_EEviT1_
    .private_segment_fixed_size: 0
    .sgpr_count:     79
    .sgpr_spill_count: 0
    .symbol:         _ZN2at6native12_GLOBAL__N_135_unfold_backward_elementwise_kernelILi256ELi4EZNS1_32_unfold_backward_internal_kernelIN3c108BFloat16EEEvRNS_14TensorIteratorEllllllEUliE_EEviT1_.kd
    .uniform_work_group_size: 1
    .uses_dynamic_stack: false
    .vgpr_count:     20
    .vgpr_spill_count: 0
    .wavefront_size: 64
amdhsa.target:   amdgcn-amd-amdhsa--gfx950
amdhsa.version:
  - 1
  - 2
...

	.end_amdgpu_metadata
